;; amdgpu-corpus repo=ROCm/rocFFT kind=compiled arch=gfx906 opt=O3
	.text
	.amdgcn_target "amdgcn-amd-amdhsa--gfx906"
	.amdhsa_code_object_version 6
	.protected	fft_rtc_fwd_len3750_factors_3_5_5_10_5_wgs_125_tpt_125_halfLds_half_ip_CI_unitstride_sbrr_dirReg ; -- Begin function fft_rtc_fwd_len3750_factors_3_5_5_10_5_wgs_125_tpt_125_halfLds_half_ip_CI_unitstride_sbrr_dirReg
	.globl	fft_rtc_fwd_len3750_factors_3_5_5_10_5_wgs_125_tpt_125_halfLds_half_ip_CI_unitstride_sbrr_dirReg
	.p2align	8
	.type	fft_rtc_fwd_len3750_factors_3_5_5_10_5_wgs_125_tpt_125_halfLds_half_ip_CI_unitstride_sbrr_dirReg,@function
fft_rtc_fwd_len3750_factors_3_5_5_10_5_wgs_125_tpt_125_halfLds_half_ip_CI_unitstride_sbrr_dirReg: ; @fft_rtc_fwd_len3750_factors_3_5_5_10_5_wgs_125_tpt_125_halfLds_half_ip_CI_unitstride_sbrr_dirReg
; %bb.0:
	s_load_dwordx2 s[2:3], s[4:5], 0x50
	s_load_dwordx4 s[8:11], s[4:5], 0x0
	s_load_dwordx2 s[12:13], s[4:5], 0x18
	v_mul_u32_u24_e32 v1, 0x20d, v0
	v_add_u32_sdwa v5, s6, v1 dst_sel:DWORD dst_unused:UNUSED_PAD src0_sel:DWORD src1_sel:WORD_1
	v_mov_b32_e32 v3, 0
	s_waitcnt lgkmcnt(0)
	v_cmp_lt_u64_e64 s[0:1], s[10:11], 2
	v_mov_b32_e32 v1, 0
	v_mov_b32_e32 v6, v3
	s_and_b64 vcc, exec, s[0:1]
	v_mov_b32_e32 v2, 0
	s_cbranch_vccnz .LBB0_8
; %bb.1:
	s_load_dwordx2 s[0:1], s[4:5], 0x10
	s_add_u32 s6, s12, 8
	s_addc_u32 s7, s13, 0
	v_mov_b32_e32 v1, 0
	v_mov_b32_e32 v2, 0
	s_waitcnt lgkmcnt(0)
	s_add_u32 s14, s0, 8
	s_addc_u32 s15, s1, 0
	s_mov_b64 s[16:17], 1
.LBB0_2:                                ; =>This Inner Loop Header: Depth=1
	s_load_dwordx2 s[18:19], s[14:15], 0x0
                                        ; implicit-def: $vgpr7_vgpr8
	s_waitcnt lgkmcnt(0)
	v_or_b32_e32 v4, s19, v6
	v_cmp_ne_u64_e32 vcc, 0, v[3:4]
	s_and_saveexec_b64 s[0:1], vcc
	s_xor_b64 s[20:21], exec, s[0:1]
	s_cbranch_execz .LBB0_4
; %bb.3:                                ;   in Loop: Header=BB0_2 Depth=1
	v_cvt_f32_u32_e32 v4, s18
	v_cvt_f32_u32_e32 v7, s19
	s_sub_u32 s0, 0, s18
	s_subb_u32 s1, 0, s19
	v_mac_f32_e32 v4, 0x4f800000, v7
	v_rcp_f32_e32 v4, v4
	v_mul_f32_e32 v4, 0x5f7ffffc, v4
	v_mul_f32_e32 v7, 0x2f800000, v4
	v_trunc_f32_e32 v7, v7
	v_mac_f32_e32 v4, 0xcf800000, v7
	v_cvt_u32_f32_e32 v7, v7
	v_cvt_u32_f32_e32 v4, v4
	v_mul_lo_u32 v8, s0, v7
	v_mul_hi_u32 v9, s0, v4
	v_mul_lo_u32 v11, s1, v4
	v_mul_lo_u32 v10, s0, v4
	v_add_u32_e32 v8, v9, v8
	v_add_u32_e32 v8, v8, v11
	v_mul_hi_u32 v9, v4, v10
	v_mul_lo_u32 v11, v4, v8
	v_mul_hi_u32 v13, v4, v8
	v_mul_hi_u32 v12, v7, v10
	v_mul_lo_u32 v10, v7, v10
	v_mul_hi_u32 v14, v7, v8
	v_add_co_u32_e32 v9, vcc, v9, v11
	v_addc_co_u32_e32 v11, vcc, 0, v13, vcc
	v_mul_lo_u32 v8, v7, v8
	v_add_co_u32_e32 v9, vcc, v9, v10
	v_addc_co_u32_e32 v9, vcc, v11, v12, vcc
	v_addc_co_u32_e32 v10, vcc, 0, v14, vcc
	v_add_co_u32_e32 v8, vcc, v9, v8
	v_addc_co_u32_e32 v9, vcc, 0, v10, vcc
	v_add_co_u32_e32 v4, vcc, v4, v8
	v_addc_co_u32_e32 v7, vcc, v7, v9, vcc
	v_mul_lo_u32 v8, s0, v7
	v_mul_hi_u32 v9, s0, v4
	v_mul_lo_u32 v10, s1, v4
	v_mul_lo_u32 v11, s0, v4
	v_add_u32_e32 v8, v9, v8
	v_add_u32_e32 v8, v8, v10
	v_mul_lo_u32 v12, v4, v8
	v_mul_hi_u32 v13, v4, v11
	v_mul_hi_u32 v14, v4, v8
	;; [unrolled: 1-line block ×3, first 2 shown]
	v_mul_lo_u32 v11, v7, v11
	v_mul_hi_u32 v9, v7, v8
	v_add_co_u32_e32 v12, vcc, v13, v12
	v_addc_co_u32_e32 v13, vcc, 0, v14, vcc
	v_mul_lo_u32 v8, v7, v8
	v_add_co_u32_e32 v11, vcc, v12, v11
	v_addc_co_u32_e32 v10, vcc, v13, v10, vcc
	v_addc_co_u32_e32 v9, vcc, 0, v9, vcc
	v_add_co_u32_e32 v8, vcc, v10, v8
	v_addc_co_u32_e32 v9, vcc, 0, v9, vcc
	v_add_co_u32_e32 v4, vcc, v4, v8
	v_addc_co_u32_e32 v9, vcc, v7, v9, vcc
	v_mad_u64_u32 v[7:8], s[0:1], v5, v9, 0
	v_mul_hi_u32 v10, v5, v4
	v_add_co_u32_e32 v11, vcc, v10, v7
	v_addc_co_u32_e32 v12, vcc, 0, v8, vcc
	v_mad_u64_u32 v[7:8], s[0:1], v6, v4, 0
	v_mad_u64_u32 v[9:10], s[0:1], v6, v9, 0
	v_add_co_u32_e32 v4, vcc, v11, v7
	v_addc_co_u32_e32 v4, vcc, v12, v8, vcc
	v_addc_co_u32_e32 v7, vcc, 0, v10, vcc
	v_add_co_u32_e32 v4, vcc, v4, v9
	v_addc_co_u32_e32 v9, vcc, 0, v7, vcc
	v_mul_lo_u32 v10, s19, v4
	v_mul_lo_u32 v11, s18, v9
	v_mad_u64_u32 v[7:8], s[0:1], s18, v4, 0
	v_add3_u32 v8, v8, v11, v10
	v_sub_u32_e32 v10, v6, v8
	v_mov_b32_e32 v11, s19
	v_sub_co_u32_e32 v7, vcc, v5, v7
	v_subb_co_u32_e64 v10, s[0:1], v10, v11, vcc
	v_subrev_co_u32_e64 v11, s[0:1], s18, v7
	v_subbrev_co_u32_e64 v10, s[0:1], 0, v10, s[0:1]
	v_cmp_le_u32_e64 s[0:1], s19, v10
	v_cndmask_b32_e64 v12, 0, -1, s[0:1]
	v_cmp_le_u32_e64 s[0:1], s18, v11
	v_cndmask_b32_e64 v11, 0, -1, s[0:1]
	v_cmp_eq_u32_e64 s[0:1], s19, v10
	v_cndmask_b32_e64 v10, v12, v11, s[0:1]
	v_add_co_u32_e64 v11, s[0:1], 2, v4
	v_addc_co_u32_e64 v12, s[0:1], 0, v9, s[0:1]
	v_add_co_u32_e64 v13, s[0:1], 1, v4
	v_addc_co_u32_e64 v14, s[0:1], 0, v9, s[0:1]
	v_subb_co_u32_e32 v8, vcc, v6, v8, vcc
	v_cmp_ne_u32_e64 s[0:1], 0, v10
	v_cmp_le_u32_e32 vcc, s19, v8
	v_cndmask_b32_e64 v10, v14, v12, s[0:1]
	v_cndmask_b32_e64 v12, 0, -1, vcc
	v_cmp_le_u32_e32 vcc, s18, v7
	v_cndmask_b32_e64 v7, 0, -1, vcc
	v_cmp_eq_u32_e32 vcc, s19, v8
	v_cndmask_b32_e32 v7, v12, v7, vcc
	v_cmp_ne_u32_e32 vcc, 0, v7
	v_cndmask_b32_e64 v7, v13, v11, s[0:1]
	v_cndmask_b32_e32 v8, v9, v10, vcc
	v_cndmask_b32_e32 v7, v4, v7, vcc
.LBB0_4:                                ;   in Loop: Header=BB0_2 Depth=1
	s_andn2_saveexec_b64 s[0:1], s[20:21]
	s_cbranch_execz .LBB0_6
; %bb.5:                                ;   in Loop: Header=BB0_2 Depth=1
	v_cvt_f32_u32_e32 v4, s18
	s_sub_i32 s20, 0, s18
	v_rcp_iflag_f32_e32 v4, v4
	v_mul_f32_e32 v4, 0x4f7ffffe, v4
	v_cvt_u32_f32_e32 v4, v4
	v_mul_lo_u32 v7, s20, v4
	v_mul_hi_u32 v7, v4, v7
	v_add_u32_e32 v4, v4, v7
	v_mul_hi_u32 v4, v5, v4
	v_mul_lo_u32 v7, v4, s18
	v_add_u32_e32 v8, 1, v4
	v_sub_u32_e32 v7, v5, v7
	v_subrev_u32_e32 v9, s18, v7
	v_cmp_le_u32_e32 vcc, s18, v7
	v_cndmask_b32_e32 v7, v7, v9, vcc
	v_cndmask_b32_e32 v4, v4, v8, vcc
	v_add_u32_e32 v8, 1, v4
	v_cmp_le_u32_e32 vcc, s18, v7
	v_cndmask_b32_e32 v7, v4, v8, vcc
	v_mov_b32_e32 v8, v3
.LBB0_6:                                ;   in Loop: Header=BB0_2 Depth=1
	s_or_b64 exec, exec, s[0:1]
	v_mul_lo_u32 v4, v8, s18
	v_mul_lo_u32 v11, v7, s19
	v_mad_u64_u32 v[9:10], s[0:1], v7, s18, 0
	s_load_dwordx2 s[0:1], s[6:7], 0x0
	s_add_u32 s16, s16, 1
	v_add3_u32 v4, v10, v11, v4
	v_sub_co_u32_e32 v5, vcc, v5, v9
	v_subb_co_u32_e32 v4, vcc, v6, v4, vcc
	s_waitcnt lgkmcnt(0)
	v_mul_lo_u32 v4, s0, v4
	v_mul_lo_u32 v6, s1, v5
	v_mad_u64_u32 v[1:2], s[0:1], s0, v5, v[1:2]
	s_addc_u32 s17, s17, 0
	s_add_u32 s6, s6, 8
	v_add3_u32 v2, v6, v2, v4
	v_mov_b32_e32 v4, s10
	v_mov_b32_e32 v5, s11
	s_addc_u32 s7, s7, 0
	v_cmp_ge_u64_e32 vcc, s[16:17], v[4:5]
	s_add_u32 s14, s14, 8
	s_addc_u32 s15, s15, 0
	s_cbranch_vccnz .LBB0_9
; %bb.7:                                ;   in Loop: Header=BB0_2 Depth=1
	v_mov_b32_e32 v5, v7
	v_mov_b32_e32 v6, v8
	s_branch .LBB0_2
.LBB0_8:
	v_mov_b32_e32 v8, v6
	v_mov_b32_e32 v7, v5
.LBB0_9:
	s_lshl_b64 s[0:1], s[10:11], 3
	s_add_u32 s0, s12, s0
	s_addc_u32 s1, s13, s1
	s_load_dwordx2 s[6:7], s[0:1], 0x0
	s_load_dwordx2 s[10:11], s[4:5], 0x20
                                        ; implicit-def: $vgpr14
                                        ; implicit-def: $vgpr15
                                        ; implicit-def: $vgpr9
                                        ; implicit-def: $vgpr25
                                        ; implicit-def: $vgpr6
                                        ; implicit-def: $vgpr26
                                        ; implicit-def: $vgpr20
                                        ; implicit-def: $vgpr31
                                        ; implicit-def: $vgpr12
                                        ; implicit-def: $vgpr33
                                        ; implicit-def: $vgpr13
                                        ; implicit-def: $vgpr28
                                        ; implicit-def: $vgpr38
                                        ; implicit-def: $vgpr24
                                        ; implicit-def: $vgpr37
                                        ; implicit-def: $vgpr17
                                        ; implicit-def: $vgpr35
                                        ; implicit-def: $vgpr44
                                        ; implicit-def: $vgpr32
                                        ; implicit-def: $vgpr43
                                        ; implicit-def: $vgpr27
                                        ; implicit-def: $vgpr41
                                        ; implicit-def: $vgpr48
                                        ; implicit-def: $vgpr39
                                        ; implicit-def: $vgpr47
                                        ; implicit-def: $vgpr34
                                        ; implicit-def: $vgpr46
                                        ; implicit-def: $vgpr10
                                        ; implicit-def: $vgpr52
                                        ; implicit-def: $vgpr11
                                        ; implicit-def: $vgpr51
                                        ; implicit-def: $vgpr40
                                        ; implicit-def: $vgpr50
                                        ; implicit-def: $vgpr21
                                        ; implicit-def: $vgpr56
                                        ; implicit-def: $vgpr22
                                        ; implicit-def: $vgpr55
                                        ; implicit-def: $vgpr45
                                        ; implicit-def: $vgpr54
                                        ; implicit-def: $vgpr30
                                        ; implicit-def: $vgpr59
                                        ; implicit-def: $vgpr23
                                        ; implicit-def: $vgpr58
                                        ; implicit-def: $vgpr49
                                        ; implicit-def: $vgpr57
                                        ; implicit-def: $vgpr36
                                        ; implicit-def: $vgpr62
                                        ; implicit-def: $vgpr29
                                        ; implicit-def: $vgpr61
                                        ; implicit-def: $vgpr53
                                        ; implicit-def: $vgpr60
                                        ; implicit-def: $vgpr42
	s_waitcnt lgkmcnt(0)
	v_mad_u64_u32 v[1:2], s[0:1], s6, v7, v[1:2]
	v_mul_lo_u32 v3, s6, v8
	v_mul_lo_u32 v4, s7, v7
	s_mov_b32 s0, 0x20c49bb
	v_mul_hi_u32 v5, v0, s0
	v_cmp_gt_u64_e64 s[0:1], s[10:11], v[7:8]
	v_add3_u32 v2, v4, v2, v3
	v_lshlrev_b64 v[18:19], 2, v[1:2]
	v_mul_u32_u24_e32 v3, 0x7d, v5
	v_sub_u32_e32 v16, v0, v3
                                        ; implicit-def: $vgpr3
                                        ; implicit-def: $vgpr2
                                        ; implicit-def: $vgpr0
                                        ; implicit-def: $vgpr7
                                        ; implicit-def: $vgpr1
                                        ; implicit-def: $vgpr4
                                        ; implicit-def: $vgpr5
                                        ; implicit-def: $vgpr8
	s_and_saveexec_b64 s[4:5], s[0:1]
	s_cbranch_execz .LBB0_11
; %bb.10:
	v_mov_b32_e32 v17, 0
	v_mov_b32_e32 v0, s3
	v_add_co_u32_e32 v2, vcc, s2, v18
	v_addc_co_u32_e32 v3, vcc, v0, v19, vcc
	v_lshlrev_b64 v[0:1], 2, v[16:17]
	s_movk_i32 s6, 0x3000
	v_add_co_u32_e32 v2, vcc, v2, v0
	v_addc_co_u32_e32 v3, vcc, v3, v1, vcc
	v_add_co_u32_e32 v6, vcc, 0x1000, v2
	v_addc_co_u32_e32 v7, vcc, 0, v3, vcc
	v_add_co_u32_e32 v14, vcc, 0x2000, v2
	v_addc_co_u32_e32 v15, vcc, 0, v3, vcc
	v_add_co_u32_e32 v25, vcc, s6, v2
	global_load_dword v29, v[14:15], off offset:1808
	global_load_dword v23, v[14:15], off offset:2308
	;; [unrolled: 1-line block ×4, first 2 shown]
	global_load_dword v42, v[2:3], off
	global_load_dword v36, v[2:3], off offset:500
	global_load_dword v30, v[2:3], off offset:1000
	;; [unrolled: 1-line block ×16, first 2 shown]
	v_addc_co_u32_e32 v26, vcc, 0, v3, vcc
	global_load_dword v39, v[14:15], off offset:3808
	global_load_dword v32, v[25:26], off offset:212
	global_load_dword v24, v[25:26], off offset:712
	global_load_dword v13, v[14:15], off offset:308
	global_load_dword v12, v[25:26], off offset:1212
	global_load_dword v7, v[14:15], off offset:808
	global_load_dword v6, v[25:26], off offset:1712
	global_load_dword v2, v[14:15], off offset:1308
	global_load_dword v3, v[25:26], off offset:2212
	s_waitcnt vmcnt(29)
	v_lshrrev_b32_e32 v62, 16, v29
	s_waitcnt vmcnt(28)
	v_lshrrev_b32_e32 v59, 16, v23
	;; [unrolled: 2-line block ×30, first 2 shown]
.LBB0_11:
	s_or_b64 exec, exec, s[4:5]
	v_add_f16_e32 v63, v29, v53
	v_fma_f16 v63, v63, -0.5, v42
	s_movk_i32 s4, 0x3aee
	s_mov_b32 s5, 0xbaee
	v_sub_f16_e32 v64, v61, v62
	v_fma_f16 v65, v64, s4, v63
	v_fma_f16 v63, v64, s5, v63
	v_add_f16_e32 v64, v61, v60
	v_add_f16_e32 v61, v62, v61
	;; [unrolled: 1-line block ×3, first 2 shown]
	v_fma_f16 v60, v61, -0.5, v60
	v_add_f16_e32 v42, v29, v42
	v_sub_f16_e32 v29, v53, v29
	v_add_f16_e32 v53, v23, v49
	v_add_f16_e32 v64, v62, v64
	v_fma_f16 v62, v29, s5, v60
	v_fma_f16 v29, v29, s4, v60
	v_fma_f16 v53, v53, -0.5, v36
	v_sub_f16_e32 v60, v58, v59
	v_fma_f16 v61, v60, s4, v53
	v_fma_f16 v53, v60, s5, v53
	v_add_f16_e32 v60, v58, v57
	v_add_f16_e32 v58, v59, v58
	;; [unrolled: 1-line block ×3, first 2 shown]
	v_fma_f16 v57, v58, -0.5, v57
	v_add_f16_e32 v36, v23, v36
	v_sub_f16_e32 v23, v49, v23
	v_fma_f16 v67, v23, s5, v57
	v_fma_f16 v68, v23, s4, v57
	v_add_f16_e32 v23, v22, v45
	v_fma_f16 v23, v23, -0.5, v30
	v_sub_f16_e32 v49, v55, v56
	v_fma_f16 v57, v49, s4, v23
	v_fma_f16 v23, v49, s5, v23
	v_add_f16_e32 v49, v55, v54
	v_add_f16_e32 v69, v56, v49
	v_add_f16_e32 v49, v56, v55
	v_add_f16_e32 v30, v45, v30
	v_fma_f16 v49, v49, -0.5, v54
	v_add_f16_e32 v30, v22, v30
	v_sub_f16_e32 v22, v45, v22
	v_fma_f16 v70, v22, s5, v49
	v_fma_f16 v71, v22, s4, v49
	v_add_f16_e32 v22, v11, v40
	v_fma_f16 v22, v22, -0.5, v21
	v_sub_f16_e32 v45, v51, v52
	v_fma_f16 v49, v45, s4, v22
	v_fma_f16 v22, v45, s5, v22
	v_add_f16_e32 v45, v51, v50
	v_add_f16_e32 v72, v52, v45
	;; [unrolled: 1-line block ×4, first 2 shown]
	v_fma_f16 v45, v45, -0.5, v50
	v_add_f16_e32 v21, v11, v21
	v_sub_f16_e32 v11, v40, v11
	v_add_f16_e32 v40, v39, v34
	v_fma_f16 v73, v11, s5, v45
	v_fma_f16 v11, v11, s4, v45
	v_fma_f16 v40, v40, -0.5, v10
	v_sub_f16_e32 v45, v47, v48
	v_fma_f16 v50, v45, s4, v40
	v_fma_f16 v40, v45, s5, v40
	v_add_f16_e32 v45, v47, v46
	v_add_f16_e32 v74, v48, v45
	;; [unrolled: 1-line block ×3, first 2 shown]
	v_fma_f16 v45, v45, -0.5, v46
	v_add_f16_e32 v10, v34, v10
	v_sub_f16_e32 v34, v34, v39
	v_add_f16_e32 v10, v39, v10
	v_fma_f16 v39, v34, s5, v45
	v_fma_f16 v34, v34, s4, v45
	v_add_f16_e32 v45, v32, v27
	v_fma_f16 v45, v45, -0.5, v8
	v_sub_f16_e32 v46, v43, v44
	v_fma_f16 v47, v46, s4, v45
	v_fma_f16 v45, v46, s5, v45
	v_add_f16_e32 v46, v43, v41
	v_add_f16_e32 v43, v44, v43
	v_fma_f16 v41, v43, -0.5, v41
	v_add_f16_e32 v8, v27, v8
	v_sub_f16_e32 v27, v27, v32
	v_add_f16_e32 v8, v32, v8
	v_fma_f16 v32, v27, s5, v41
	v_fma_f16 v76, v27, s4, v41
	v_add_f16_e32 v27, v24, v17
	v_fma_f16 v27, v27, -0.5, v5
	v_sub_f16_e32 v41, v37, v38
	v_fma_f16 v43, v41, s4, v27
	v_fma_f16 v27, v41, s5, v27
	v_add_f16_e32 v41, v37, v35
	v_add_f16_e32 v37, v38, v37
	v_fma_f16 v35, v37, -0.5, v35
	v_add_f16_e32 v5, v17, v5
	v_sub_f16_e32 v17, v17, v24
	v_add_f16_e32 v5, v24, v5
	v_fma_f16 v24, v17, s5, v35
	v_fma_f16 v37, v17, s4, v35
	v_add_f16_e32 v17, v12, v13
	v_fma_f16 v17, v17, -0.5, v4
	v_sub_f16_e32 v35, v33, v31
	v_add_f16_e32 v77, v38, v41
	v_fma_f16 v38, v35, s4, v17
	v_fma_f16 v17, v35, s5, v17
	v_add_f16_e32 v35, v33, v28
	v_add_f16_e32 v78, v31, v35
	;; [unrolled: 1-line block ×4, first 2 shown]
	v_fma_f16 v28, v31, -0.5, v28
	v_add_f16_e32 v4, v12, v4
	v_sub_f16_e32 v12, v13, v12
	v_fma_f16 v13, v12, s5, v28
	v_fma_f16 v12, v12, s4, v28
	v_add_f16_e32 v28, v6, v7
	v_fma_f16 v28, v28, -0.5, v1
	v_sub_f16_e32 v31, v26, v25
	v_fma_f16 v33, v31, s4, v28
	v_fma_f16 v28, v31, s5, v28
	v_add_f16_e32 v31, v26, v20
	v_add_f16_e32 v79, v25, v31
	;; [unrolled: 1-line block ×4, first 2 shown]
	v_fma_f16 v20, v25, -0.5, v20
	v_add_f16_e32 v1, v6, v1
	v_sub_f16_e32 v6, v7, v6
	v_fma_f16 v7, v6, s5, v20
	v_fma_f16 v6, v6, s4, v20
	v_add_f16_e32 v20, v3, v2
	v_fma_f16 v20, v20, -0.5, v0
	v_sub_f16_e32 v25, v15, v14
	v_fma_f16 v26, v25, s4, v20
	v_fma_f16 v20, v25, s5, v20
	v_add_f16_e32 v25, v15, v9
	v_add_f16_e32 v25, v14, v25
	v_add_f16_e32 v14, v14, v15
	v_fma_f16 v9, v14, -0.5, v9
	v_add_f16_e32 v0, v2, v0
	v_sub_f16_e32 v2, v2, v3
	v_add_f16_e32 v0, v3, v0
	v_fma_f16 v3, v2, s5, v9
	v_fma_f16 v2, v2, s4, v9
	v_mad_u32_u24 v9, v16, 6, 0
	s_movk_i32 s4, 0xab
	ds_write_b16 v9, v42
	ds_write_b16 v9, v65 offset:2
	ds_write_b16 v9, v63 offset:4
	;; [unrolled: 1-line block ×29, first 2 shown]
	v_lshl_add_u32 v17, v16, 1, 0
	v_mul_lo_u16_sdwa v0, v16, s4 dst_sel:DWORD dst_unused:UNUSED_PAD src0_sel:BYTE_0 src1_sel:DWORD
	v_add_f16_e32 v66, v59, v60
	v_add_f16_e32 v75, v44, v46
	s_waitcnt lgkmcnt(0)
	s_barrier
	ds_read_u16 v49, v17 offset:3500
	ds_read_u16 v46, v17 offset:3750
	ds_read_u16 v35, v17
	ds_read_u16 v31, v17 offset:250
	ds_read_u16 v30, v17 offset:500
	ds_read_u16 v23, v17 offset:750
	ds_read_u16 v22, v17 offset:1000
	ds_read_u16 v53, v17 offset:2000
	ds_read_u16 v50, v17 offset:2250
	ds_read_u16 v45, v17 offset:2500
	ds_read_u16 v43, v17 offset:4000
	ds_read_u16 v56, v17 offset:1750
	ds_read_u16 v28, v17 offset:1500
	ds_read_u16 v21, v17 offset:1250
	ds_read_u16 v57, v17 offset:3250
	ds_read_u16 v27, v17 offset:3000
	ds_read_u16 v41, v17 offset:2750
	ds_read_u16 v54, v17 offset:5000
	ds_read_u16 v51, v17 offset:5250
	ds_read_u16 v47, v17 offset:5500
	ds_read_u16 v40, v17 offset:5750
	ds_read_u16 v58, v17 offset:4750
	ds_read_u16 v61, v17 offset:4500
	ds_read_u16 v44, v17 offset:4250
	ds_read_u16 v60, v17 offset:6000
	ds_read_u16 v59, v17 offset:6250
	ds_read_u16 v55, v17 offset:6500
	ds_read_u16 v52, v17 offset:6750
	ds_read_u16 v48, v17 offset:7000
	ds_read_u16 v42, v17 offset:7250
	s_waitcnt lgkmcnt(0)
	s_barrier
	ds_write_b16 v9, v64
	ds_write_b16 v9, v62 offset:2
	ds_write_b16 v9, v29 offset:4
	;; [unrolled: 1-line block ×29, first 2 shown]
	v_lshrrev_b16_e32 v29, 9, v0
	v_mul_lo_u16_e32 v0, 3, v29
	v_sub_u16_e32 v32, v16, v0
	v_mov_b32_e32 v20, 4
	v_lshlrev_b32_sdwa v0, v20, v32 dst_sel:DWORD dst_unused:UNUSED_PAD src0_sel:DWORD src1_sel:BYTE_0
	s_waitcnt lgkmcnt(0)
	s_barrier
	global_load_dwordx4 v[0:3], v0, s[8:9]
	v_add_u32_e32 v24, 0x7d, v16
	v_mul_lo_u16_sdwa v4, v24, s4 dst_sel:DWORD dst_unused:UNUSED_PAD src0_sel:BYTE_0 src1_sel:DWORD
	v_lshrrev_b16_e32 v33, 9, v4
	v_mul_lo_u16_e32 v4, 3, v33
	v_sub_u16_e32 v34, v24, v4
	v_lshlrev_b32_sdwa v4, v20, v34 dst_sel:DWORD dst_unused:UNUSED_PAD src0_sel:DWORD src1_sel:BYTE_0
	global_load_dwordx4 v[4:7], v4, s[8:9]
	s_mov_b32 s4, 0xaaab
	v_add_u32_e32 v25, 0xfa, v16
	v_mul_u32_u24_sdwa v8, v25, s4 dst_sel:DWORD dst_unused:UNUSED_PAD src0_sel:WORD_0 src1_sel:DWORD
	v_lshrrev_b32_e32 v36, 17, v8
	v_mul_lo_u16_e32 v8, 3, v36
	v_sub_u16_e32 v37, v25, v8
	v_lshlrev_b32_e32 v8, 4, v37
	global_load_dwordx4 v[12:15], v8, s[8:9]
	v_add_u32_e32 v26, 0x177, v16
	ds_read_u16 v62, v17 offset:1500
	v_mul_u32_u24_sdwa v8, v26, s4 dst_sel:DWORD dst_unused:UNUSED_PAD src0_sel:WORD_0 src1_sel:DWORD
	v_lshrrev_b32_e32 v38, 17, v8
	v_mul_lo_u16_e32 v8, 3, v38
	v_sub_u16_e32 v39, v26, v8
	v_lshlrev_b32_e32 v8, 4, v39
	global_load_dwordx4 v[8:11], v8, s[8:9]
	ds_read_u16 v63, v17 offset:1750
	ds_read_u16 v64, v17 offset:1250
	s_mov_b32 s7, 0xbb9c
	s_movk_i32 s5, 0x38b4
	s_mov_b32 s10, 0xb8b4
	s_movk_i32 s6, 0x34f2
	s_movk_i32 s11, 0x89
	;; [unrolled: 1-line block ×3, first 2 shown]
	s_waitcnt vmcnt(3) lgkmcnt(2)
	v_mul_f16_sdwa v65, v62, v0 dst_sel:DWORD dst_unused:UNUSED_PAD src0_sel:DWORD src1_sel:WORD_1
	v_fma_f16 v73, v28, v0, -v65
	v_mul_f16_sdwa v28, v28, v0 dst_sel:DWORD dst_unused:UNUSED_PAD src0_sel:DWORD src1_sel:WORD_1
	v_fma_f16 v0, v62, v0, v28
	ds_read_u16 v62, v17 offset:3000
	ds_read_u16 v74, v17 offset:3250
	;; [unrolled: 1-line block ×8, first 2 shown]
	s_waitcnt lgkmcnt(7)
	v_mul_f16_sdwa v28, v62, v1 dst_sel:DWORD dst_unused:UNUSED_PAD src0_sel:DWORD src1_sel:WORD_1
	v_fma_f16 v81, v27, v1, -v28
	v_add_u32_e32 v28, 0x1f4, v16
	v_mul_u32_u24_sdwa v65, v28, s4 dst_sel:DWORD dst_unused:UNUSED_PAD src0_sel:WORD_0 src1_sel:DWORD
	v_lshrrev_b32_e32 v82, 17, v65
	v_mul_lo_u16_e32 v65, 3, v82
	v_sub_u16_e32 v83, v28, v65
	v_lshlrev_b32_e32 v65, 4, v83
	global_load_dwordx4 v[65:68], v65, s[8:9]
	v_mul_f16_sdwa v27, v27, v1 dst_sel:DWORD dst_unused:UNUSED_PAD src0_sel:DWORD src1_sel:WORD_1
	v_fma_f16 v1, v62, v1, v27
	v_add_u32_e32 v27, 0x271, v16
	v_mul_u32_u24_sdwa v69, v27, s4 dst_sel:DWORD dst_unused:UNUSED_PAD src0_sel:WORD_0 src1_sel:DWORD
	v_lshrrev_b32_e32 v84, 17, v69
	v_mul_lo_u16_e32 v69, 3, v84
	v_sub_u16_e32 v85, v27, v69
	v_lshlrev_b32_e32 v69, 4, v85
	global_load_dwordx4 v[69:72], v69, s[8:9]
	ds_read_u16 v62, v17 offset:4000
	ds_read_u16 v86, v17 offset:4500
	;; [unrolled: 1-line block ×8, first 2 shown]
	s_waitcnt lgkmcnt(6)
	v_mul_f16_sdwa v93, v86, v2 dst_sel:DWORD dst_unused:UNUSED_PAD src0_sel:DWORD src1_sel:WORD_1
	v_fma_f16 v93, v61, v2, -v93
	v_mul_f16_sdwa v61, v61, v2 dst_sel:DWORD dst_unused:UNUSED_PAD src0_sel:DWORD src1_sel:WORD_1
	v_fma_f16 v2, v86, v2, v61
	ds_read_u16 v61, v17 offset:6000
	ds_read_u16 v86, v17 offset:6250
	;; [unrolled: 1-line block ×6, first 2 shown]
	s_waitcnt lgkmcnt(5)
	v_mul_f16_sdwa v98, v61, v3 dst_sel:DWORD dst_unused:UNUSED_PAD src0_sel:DWORD src1_sel:WORD_1
	v_fma_f16 v98, v60, v3, -v98
	v_mul_f16_sdwa v60, v60, v3 dst_sel:DWORD dst_unused:UNUSED_PAD src0_sel:DWORD src1_sel:WORD_1
	v_fma_f16 v3, v61, v3, v60
	s_waitcnt vmcnt(4)
	v_mul_f16_sdwa v60, v63, v4 dst_sel:DWORD dst_unused:UNUSED_PAD src0_sel:DWORD src1_sel:WORD_1
	v_fma_f16 v99, v56, v4, -v60
	v_mul_f16_sdwa v56, v56, v4 dst_sel:DWORD dst_unused:UNUSED_PAD src0_sel:DWORD src1_sel:WORD_1
	v_fma_f16 v4, v63, v4, v56
	v_mul_f16_sdwa v56, v74, v5 dst_sel:DWORD dst_unused:UNUSED_PAD src0_sel:DWORD src1_sel:WORD_1
	v_fma_f16 v63, v57, v5, -v56
	v_mul_f16_sdwa v56, v57, v5 dst_sel:DWORD dst_unused:UNUSED_PAD src0_sel:DWORD src1_sel:WORD_1
	v_fma_f16 v5, v74, v5, v56
	;; [unrolled: 4-line block ×3, first 2 shown]
	s_waitcnt lgkmcnt(4)
	v_mul_f16_sdwa v56, v86, v7 dst_sel:DWORD dst_unused:UNUSED_PAD src0_sel:DWORD src1_sel:WORD_1
	v_fma_f16 v87, v59, v7, -v56
	v_mul_f16_sdwa v56, v59, v7 dst_sel:DWORD dst_unused:UNUSED_PAD src0_sel:DWORD src1_sel:WORD_1
	v_fma_f16 v7, v86, v7, v56
	s_waitcnt vmcnt(3)
	v_mul_f16_sdwa v56, v77, v12 dst_sel:DWORD dst_unused:UNUSED_PAD src0_sel:DWORD src1_sel:WORD_1
	v_fma_f16 v59, v53, v12, -v56
	v_mul_f16_sdwa v53, v53, v12 dst_sel:DWORD dst_unused:UNUSED_PAD src0_sel:DWORD src1_sel:WORD_1
	v_fma_f16 v12, v77, v12, v53
	v_mul_f16_sdwa v53, v75, v13 dst_sel:DWORD dst_unused:UNUSED_PAD src0_sel:DWORD src1_sel:WORD_1
	v_fma_f16 v77, v49, v13, -v53
	v_mul_f16_sdwa v49, v49, v13 dst_sel:DWORD dst_unused:UNUSED_PAD src0_sel:DWORD src1_sel:WORD_1
	v_fma_f16 v13, v75, v13, v49
	v_mul_f16_sdwa v49, v88, v14 dst_sel:DWORD dst_unused:UNUSED_PAD src0_sel:DWORD src1_sel:WORD_1
	v_mul_f16_sdwa v53, v54, v14 dst_sel:DWORD dst_unused:UNUSED_PAD src0_sel:DWORD src1_sel:WORD_1
	v_fma_f16 v49, v54, v14, -v49
	v_fma_f16 v14, v88, v14, v53
	s_waitcnt lgkmcnt(3)
	v_mul_f16_sdwa v53, v94, v15 dst_sel:DWORD dst_unused:UNUSED_PAD src0_sel:DWORD src1_sel:WORD_1
	v_fma_f16 v75, v55, v15, -v53
	v_mul_f16_sdwa v53, v55, v15 dst_sel:DWORD dst_unused:UNUSED_PAD src0_sel:DWORD src1_sel:WORD_1
	v_fma_f16 v15, v94, v15, v53
	s_waitcnt vmcnt(2)
	v_mul_f16_sdwa v53, v78, v8 dst_sel:DWORD dst_unused:UNUSED_PAD src0_sel:DWORD src1_sel:WORD_1
	v_fma_f16 v86, v50, v8, -v53
	v_mul_f16_sdwa v50, v50, v8 dst_sel:DWORD dst_unused:UNUSED_PAD src0_sel:DWORD src1_sel:WORD_1
	v_fma_f16 v8, v78, v8, v50
	v_mul_f16_sdwa v50, v76, v9 dst_sel:DWORD dst_unused:UNUSED_PAD src0_sel:DWORD src1_sel:WORD_1
	v_fma_f16 v50, v46, v9, -v50
	v_mul_f16_sdwa v46, v46, v9 dst_sel:DWORD dst_unused:UNUSED_PAD src0_sel:DWORD src1_sel:WORD_1
	v_fma_f16 v9, v76, v9, v46
	v_mul_f16_sdwa v46, v89, v10 dst_sel:DWORD dst_unused:UNUSED_PAD src0_sel:DWORD src1_sel:WORD_1
	v_fma_f16 v46, v51, v10, -v46
	v_mul_f16_sdwa v51, v51, v10 dst_sel:DWORD dst_unused:UNUSED_PAD src0_sel:DWORD src1_sel:WORD_1
	v_fma_f16 v10, v89, v10, v51
	s_waitcnt lgkmcnt(2)
	v_mul_f16_sdwa v51, v95, v11 dst_sel:DWORD dst_unused:UNUSED_PAD src0_sel:DWORD src1_sel:WORD_1
	v_fma_f16 v76, v52, v11, -v51
	v_mul_f16_sdwa v51, v52, v11 dst_sel:DWORD dst_unused:UNUSED_PAD src0_sel:DWORD src1_sel:WORD_1
	v_fma_f16 v11, v95, v11, v51
	s_movk_i32 s4, 0x3b9c
	v_sub_f16_e32 v55, v13, v14
	v_sub_f16_e32 v56, v49, v75
	;; [unrolled: 1-line block ×4, first 2 shown]
	s_waitcnt vmcnt(1)
	v_mul_f16_sdwa v51, v79, v65 dst_sel:DWORD dst_unused:UNUSED_PAD src0_sel:DWORD src1_sel:WORD_1
	v_fma_f16 v78, v45, v65, -v51
	v_mul_f16_sdwa v45, v45, v65 dst_sel:DWORD dst_unused:UNUSED_PAD src0_sel:DWORD src1_sel:WORD_1
	v_mul_f16_sdwa v51, v62, v66 dst_sel:DWORD dst_unused:UNUSED_PAD src0_sel:DWORD src1_sel:WORD_1
	v_fma_f16 v45, v79, v65, v45
	v_fma_f16 v65, v43, v66, -v51
	v_mul_f16_sdwa v43, v43, v66 dst_sel:DWORD dst_unused:UNUSED_PAD src0_sel:DWORD src1_sel:WORD_1
	v_fma_f16 v62, v62, v66, v43
	v_mul_f16_sdwa v43, v90, v67 dst_sel:DWORD dst_unused:UNUSED_PAD src0_sel:DWORD src1_sel:WORD_1
	v_fma_f16 v66, v47, v67, -v43
	v_mul_f16_sdwa v43, v47, v67 dst_sel:DWORD dst_unused:UNUSED_PAD src0_sel:DWORD src1_sel:WORD_1
	v_fma_f16 v67, v90, v67, v43
	s_waitcnt lgkmcnt(1)
	v_mul_f16_sdwa v43, v96, v68 dst_sel:DWORD dst_unused:UNUSED_PAD src0_sel:DWORD src1_sel:WORD_1
	v_fma_f16 v79, v48, v68, -v43
	v_mul_f16_sdwa v43, v48, v68 dst_sel:DWORD dst_unused:UNUSED_PAD src0_sel:DWORD src1_sel:WORD_1
	v_fma_f16 v68, v96, v68, v43
	s_waitcnt vmcnt(0)
	v_mul_f16_sdwa v43, v80, v69 dst_sel:DWORD dst_unused:UNUSED_PAD src0_sel:DWORD src1_sel:WORD_1
	v_fma_f16 v88, v41, v69, -v43
	v_mul_f16_sdwa v41, v41, v69 dst_sel:DWORD dst_unused:UNUSED_PAD src0_sel:DWORD src1_sel:WORD_1
	v_fma_f16 v69, v80, v69, v41
	v_mul_f16_sdwa v41, v92, v70 dst_sel:DWORD dst_unused:UNUSED_PAD src0_sel:DWORD src1_sel:WORD_1
	v_fma_f16 v80, v44, v70, -v41
	v_mul_f16_sdwa v41, v44, v70 dst_sel:DWORD dst_unused:UNUSED_PAD src0_sel:DWORD src1_sel:WORD_1
	v_fma_f16 v70, v92, v70, v41
	;; [unrolled: 4-line block ×3, first 2 shown]
	s_waitcnt lgkmcnt(0)
	v_mul_f16_sdwa v40, v97, v72 dst_sel:DWORD dst_unused:UNUSED_PAD src0_sel:DWORD src1_sel:WORD_1
	v_fma_f16 v90, v42, v72, -v40
	v_mul_f16_sdwa v40, v42, v72 dst_sel:DWORD dst_unused:UNUSED_PAD src0_sel:DWORD src1_sel:WORD_1
	v_fma_f16 v72, v97, v72, v40
	v_sub_f16_e32 v40, v73, v81
	v_sub_f16_e32 v41, v98, v93
	v_add_f16_e32 v40, v40, v41
	v_add_f16_e32 v41, v81, v93
	v_fma_f16 v41, v41, -0.5, v35
	v_sub_f16_e32 v42, v0, v3
	v_fma_f16 v43, v42, s4, v41
	v_sub_f16_e32 v44, v1, v2
	v_fma_f16 v41, v42, s7, v41
	v_fma_f16 v43, v44, s5, v43
	;; [unrolled: 1-line block ×5, first 2 shown]
	v_sub_f16_e32 v41, v81, v73
	v_sub_f16_e32 v47, v93, v98
	v_add_f16_e32 v41, v41, v47
	v_add_f16_e32 v47, v73, v98
	v_fma_f16 v47, v47, -0.5, v35
	v_fma_f16 v48, v44, s7, v47
	v_fma_f16 v44, v44, s4, v47
	;; [unrolled: 1-line block ×4, first 2 shown]
	v_add_f16_e32 v35, v35, v73
	v_sub_f16_e32 v48, v0, v1
	v_sub_f16_e32 v51, v3, v2
	v_fma_f16 v44, v41, s6, v47
	v_fma_f16 v41, v41, s6, v42
	v_add_f16_e32 v35, v35, v81
	v_sub_f16_e32 v42, v73, v98
	v_sub_f16_e32 v47, v81, v93
	v_add_f16_e32 v48, v48, v51
	v_add_f16_e32 v51, v1, v2
	ds_read_u16 v52, v17
	ds_read_u16 v73, v17 offset:250
	ds_read_u16 v81, v17 offset:500
	;; [unrolled: 1-line block ×4, first 2 shown]
	s_waitcnt lgkmcnt(4)
	v_fma_f16 v51, v51, -0.5, v52
	v_fma_f16 v53, v42, s7, v51
	v_fma_f16 v51, v42, s4, v51
	;; [unrolled: 1-line block ×5, first 2 shown]
	v_add_f16_e32 v51, v52, v0
	v_add_f16_e32 v35, v35, v93
	v_fma_f16 v93, v48, s6, v53
	v_add_f16_e32 v48, v0, v3
	v_add_f16_e32 v51, v51, v1
	v_fma_f16 v48, v48, -0.5, v52
	v_sub_f16_e32 v0, v1, v0
	v_add_f16_e32 v1, v51, v2
	v_sub_f16_e32 v2, v2, v3
	v_add_f16_e32 v1, v1, v3
	v_add_f16_e32 v0, v0, v2
	v_fma_f16 v2, v47, s4, v48
	v_fma_f16 v3, v47, s7, v48
	;; [unrolled: 1-line block ×6, first 2 shown]
	v_sub_f16_e32 v3, v99, v63
	v_sub_f16_e32 v42, v87, v74
	v_add_f16_e32 v3, v3, v42
	v_add_f16_e32 v42, v63, v74
	v_fma_f16 v42, v42, -0.5, v31
	v_sub_f16_e32 v47, v4, v7
	v_fma_f16 v48, v47, s4, v42
	v_sub_f16_e32 v51, v5, v6
	v_fma_f16 v42, v47, s7, v42
	v_fma_f16 v48, v51, s5, v48
	;; [unrolled: 1-line block ×5, first 2 shown]
	v_sub_f16_e32 v42, v63, v99
	v_sub_f16_e32 v52, v74, v87
	v_add_f16_e32 v42, v42, v52
	v_add_f16_e32 v52, v99, v87
	v_fma_f16 v52, v52, -0.5, v31
	v_fma_f16 v53, v51, s7, v52
	v_fma_f16 v51, v51, s4, v52
	;; [unrolled: 1-line block ×6, first 2 shown]
	v_sub_f16_e32 v47, v59, v77
	v_sub_f16_e32 v52, v75, v49
	v_add_f16_e32 v47, v47, v52
	v_add_f16_e32 v52, v77, v49
	v_fma_f16 v52, v52, -0.5, v30
	v_sub_f16_e32 v53, v12, v15
	v_fma_f16 v54, v53, s4, v52
	v_fma_f16 v52, v53, s7, v52
	;; [unrolled: 1-line block ×6, first 2 shown]
	v_sub_f16_e32 v52, v77, v59
	v_add_f16_e32 v52, v52, v56
	v_add_f16_e32 v56, v59, v75
	v_fma_f16 v56, v56, -0.5, v30
	v_fma_f16 v57, v55, s7, v56
	v_fma_f16 v55, v55, s4, v56
	v_fma_f16 v56, v53, s5, v57
	v_fma_f16 v53, v53, s10, v55
	v_fma_f16 v55, v52, s6, v56
	v_fma_f16 v52, v52, s6, v53
	v_sub_f16_e32 v53, v86, v50
	v_sub_f16_e32 v56, v76, v46
	v_add_f16_e32 v53, v53, v56
	v_add_f16_e32 v56, v50, v46
	v_fma_f16 v56, v56, -0.5, v23
	v_sub_f16_e32 v57, v8, v11
	v_fma_f16 v58, v57, s4, v56
	v_fma_f16 v56, v57, s7, v56
	;; [unrolled: 1-line block ×6, first 2 shown]
	v_sub_f16_e32 v56, v50, v86
	v_add_f16_e32 v56, v56, v61
	v_add_f16_e32 v61, v86, v76
	v_fma_f16 v61, v61, -0.5, v23
	v_fma_f16 v95, v60, s7, v61
	v_fma_f16 v60, v60, s4, v61
	;; [unrolled: 1-line block ×6, first 2 shown]
	v_sub_f16_e32 v57, v78, v65
	v_sub_f16_e32 v61, v79, v66
	v_add_f16_e32 v57, v57, v61
	v_add_f16_e32 v61, v65, v66
	v_fma_f16 v61, v61, -0.5, v22
	v_sub_f16_e32 v95, v45, v68
	v_fma_f16 v96, v95, s4, v61
	v_sub_f16_e32 v97, v62, v67
	v_fma_f16 v61, v95, s7, v61
	v_fma_f16 v96, v97, s5, v96
	;; [unrolled: 1-line block ×3, first 2 shown]
	v_add_f16_e32 v35, v35, v98
	v_fma_f16 v96, v57, s6, v96
	v_fma_f16 v57, v57, s6, v61
	v_sub_f16_e32 v61, v65, v78
	v_sub_f16_e32 v98, v66, v79
	v_add_f16_e32 v61, v61, v98
	v_add_f16_e32 v98, v78, v79
	v_fma_f16 v98, v98, -0.5, v22
	v_fma_f16 v100, v97, s7, v98
	v_fma_f16 v97, v97, s4, v98
	;; [unrolled: 1-line block ×6, first 2 shown]
	v_sub_f16_e32 v95, v88, v80
	v_sub_f16_e32 v98, v90, v89
	v_add_f16_e32 v95, v95, v98
	v_add_f16_e32 v98, v80, v89
	v_fma_f16 v98, v98, -0.5, v21
	v_sub_f16_e32 v100, v69, v72
	v_fma_f16 v101, v100, s4, v98
	v_sub_f16_e32 v102, v70, v71
	v_fma_f16 v98, v100, s7, v98
	v_fma_f16 v101, v102, s5, v101
	;; [unrolled: 1-line block ×5, first 2 shown]
	v_sub_f16_e32 v98, v80, v88
	v_sub_f16_e32 v103, v89, v90
	v_add_f16_e32 v98, v98, v103
	v_add_f16_e32 v103, v88, v90
	v_fma_f16 v103, v103, -0.5, v21
	v_fma_f16 v104, v102, s7, v103
	v_fma_f16 v102, v102, s4, v103
	;; [unrolled: 1-line block ×6, first 2 shown]
	v_mul_u32_u24_e32 v100, 30, v29
	v_mov_b32_e32 v29, 1
	v_add_f16_e32 v31, v31, v99
	v_lshlrev_b32_sdwa v32, v29, v32 dst_sel:DWORD dst_unused:UNUSED_PAD src0_sel:DWORD src1_sel:BYTE_0
	v_add_f16_e32 v31, v31, v63
	v_add3_u32 v100, 0, v100, v32
	v_mul_u32_u24_e32 v32, 30, v33
	v_lshlrev_b32_sdwa v33, v29, v34 dst_sel:DWORD dst_unused:UNUSED_PAD src0_sel:DWORD src1_sel:BYTE_0
	v_add_f16_e32 v31, v31, v74
	v_add_f16_e32 v30, v30, v59
	v_add3_u32 v103, 0, v32, v33
	v_add_f16_e32 v31, v31, v87
	v_add_f16_e32 v30, v30, v77
	s_waitcnt lgkmcnt(0)
	s_barrier
	ds_write_b16 v100, v35
	ds_write_b16 v100, v43 offset:6
	ds_write_b16 v100, v44 offset:12
	;; [unrolled: 1-line block ×4, first 2 shown]
	ds_write_b16 v103, v31
	ds_write_b16 v103, v48 offset:6
	ds_write_b16 v103, v51 offset:12
	ds_write_b16 v103, v42 offset:18
	ds_write_b16 v103, v3 offset:24
	v_mul_u32_u24_e32 v3, 30, v36
	v_lshlrev_b32_e32 v31, 1, v37
	v_add_f16_e32 v30, v30, v49
	v_add_f16_e32 v23, v23, v86
	v_add3_u32 v3, 0, v3, v31
	v_add_f16_e32 v30, v30, v75
	v_add_f16_e32 v23, v23, v50
	ds_write_b16 v3, v30
	ds_write_b16 v3, v54 offset:6
	ds_write_b16 v3, v55 offset:12
	ds_write_b16 v3, v52 offset:18
	ds_write_b16 v3, v47 offset:24
	v_mul_u32_u24_e32 v30, 30, v38
	v_lshlrev_b32_e32 v31, 1, v39
	v_add_f16_e32 v23, v23, v46
	v_add_f16_e32 v22, v22, v78
	v_add3_u32 v104, 0, v30, v31
	v_add_f16_e32 v23, v23, v76
	v_add_f16_e32 v22, v22, v65
	;; [unrolled: 12-line block ×3, first 2 shown]
	ds_write_b16 v82, v22
	ds_write_b16 v82, v96 offset:6
	ds_write_b16 v82, v97 offset:12
	;; [unrolled: 1-line block ×4, first 2 shown]
	v_mul_u32_u24_e32 v22, 30, v84
	v_lshlrev_b32_e32 v23, 1, v85
	v_add_f16_e32 v21, v21, v89
	v_add3_u32 v83, 0, v22, v23
	v_add_f16_e32 v21, v21, v90
	ds_write_b16 v83, v21
	ds_write_b16 v83, v101 offset:6
	ds_write_b16 v83, v102 offset:12
	ds_write_b16 v83, v98 offset:18
	ds_write_b16 v83, v95 offset:24
	s_waitcnt lgkmcnt(0)
	s_barrier
	ds_read_u16 v42, v17 offset:3500
	ds_read_u16 v39, v17 offset:3750
	ds_read_u16 v32, v17
	ds_read_u16 v31, v17 offset:250
	ds_read_u16 v30, v17 offset:500
	;; [unrolled: 1-line block ×27, first 2 shown]
	s_waitcnt lgkmcnt(0)
	s_barrier
	ds_write_b16 v100, v1
	ds_write_b16 v100, v93 offset:6
	ds_write_b16 v100, v2 offset:12
	;; [unrolled: 1-line block ×4, first 2 shown]
	v_sub_f16_e32 v1, v63, v74
	v_sub_f16_e32 v2, v4, v5
	;; [unrolled: 1-line block ×3, first 2 shown]
	v_add_f16_e32 v2, v2, v63
	v_add_f16_e32 v63, v5, v6
	v_sub_f16_e32 v0, v99, v87
	v_fma_f16 v63, v63, -0.5, v73
	v_fma_f16 v74, v0, s7, v63
	v_fma_f16 v63, v0, s4, v63
	;; [unrolled: 1-line block ×6, first 2 shown]
	v_add_f16_e32 v63, v4, v7
	v_fma_f16 v63, v63, -0.5, v73
	v_add_f16_e32 v73, v73, v4
	v_add_f16_e32 v73, v73, v5
	v_sub_f16_e32 v4, v5, v4
	v_add_f16_e32 v5, v73, v6
	v_sub_f16_e32 v6, v6, v7
	v_add_f16_e32 v4, v4, v6
	v_fma_f16 v6, v1, s4, v63
	v_fma_f16 v1, v1, s7, v63
	v_add_f16_e32 v5, v5, v7
	v_fma_f16 v6, v0, s10, v6
	v_fma_f16 v0, v0, s5, v1
	;; [unrolled: 1-line block ×4, first 2 shown]
	ds_write_b16 v103, v5
	ds_write_b16 v103, v74 offset:6
	ds_write_b16 v103, v1 offset:12
	;; [unrolled: 1-line block ×4, first 2 shown]
	v_sub_f16_e32 v2, v12, v13
	v_sub_f16_e32 v4, v15, v14
	v_add_f16_e32 v2, v2, v4
	v_add_f16_e32 v4, v13, v14
	v_sub_f16_e32 v0, v59, v75
	v_fma_f16 v4, v4, -0.5, v81
	v_sub_f16_e32 v1, v77, v49
	v_fma_f16 v5, v0, s7, v4
	v_fma_f16 v4, v0, s4, v4
	v_fma_f16 v5, v1, s10, v5
	v_fma_f16 v4, v1, s5, v4
	v_fma_f16 v5, v2, s6, v5
	v_fma_f16 v2, v2, s6, v4
	v_add_f16_e32 v4, v12, v15
	v_fma_f16 v4, v4, -0.5, v81
	v_add_f16_e32 v6, v81, v12
	v_sub_f16_e32 v7, v13, v12
	v_sub_f16_e32 v12, v14, v15
	v_add_f16_e32 v7, v7, v12
	v_fma_f16 v12, v1, s4, v4
	v_add_f16_e32 v6, v6, v13
	v_fma_f16 v1, v1, s7, v4
	v_fma_f16 v4, v0, s10, v12
	v_sub_f16_e32 v12, v8, v9
	v_sub_f16_e32 v13, v11, v10
	v_add_f16_e32 v12, v12, v13
	v_add_f16_e32 v13, v9, v10
	v_fma_f16 v0, v0, s5, v1
	v_fma_f16 v1, v7, s6, v4
	v_sub_f16_e32 v4, v86, v76
	v_fma_f16 v13, v13, -0.5, v91
	v_add_f16_e32 v6, v6, v14
	v_fma_f16 v0, v7, s6, v0
	v_sub_f16_e32 v7, v50, v46
	v_fma_f16 v14, v4, s7, v13
	v_fma_f16 v13, v4, s4, v13
	v_add_f16_e32 v6, v6, v15
	v_fma_f16 v14, v7, s10, v14
	v_fma_f16 v13, v7, s5, v13
	v_add_f16_e32 v15, v91, v8
	;; [unrolled: 3-line block ×3, first 2 shown]
	v_add_f16_e32 v15, v15, v9
	v_fma_f16 v13, v13, -0.5, v91
	v_sub_f16_e32 v8, v9, v8
	v_add_f16_e32 v9, v15, v10
	v_sub_f16_e32 v10, v10, v11
	v_add_f16_e32 v9, v9, v11
	v_add_f16_e32 v8, v8, v10
	v_fma_f16 v10, v7, s4, v13
	v_fma_f16 v7, v7, s7, v13
	v_sub_f16_e32 v11, v45, v62
	v_sub_f16_e32 v13, v68, v67
	v_fma_f16 v10, v4, s10, v10
	v_fma_f16 v4, v4, s5, v7
	v_add_f16_e32 v11, v11, v13
	v_add_f16_e32 v13, v62, v67
	v_fma_f16 v7, v8, s6, v10
	v_fma_f16 v4, v8, s6, v4
	v_sub_f16_e32 v8, v78, v79
	v_fma_f16 v13, v13, -0.5, v92
	v_sub_f16_e32 v10, v65, v66
	v_fma_f16 v15, v8, s7, v13
	v_fma_f16 v13, v8, s4, v13
	;; [unrolled: 1-line block ×6, first 2 shown]
	v_add_f16_e32 v13, v45, v68
	v_fma_f16 v13, v13, -0.5, v92
	v_add_f16_e32 v46, v92, v45
	v_sub_f16_e32 v45, v62, v45
	v_sub_f16_e32 v49, v67, v68
	v_add_f16_e32 v45, v45, v49
	v_fma_f16 v49, v10, s4, v13
	v_fma_f16 v10, v10, s7, v13
	;; [unrolled: 1-line block ×3, first 2 shown]
	v_sub_f16_e32 v49, v69, v70
	v_sub_f16_e32 v50, v72, v71
	v_add_f16_e32 v49, v49, v50
	v_add_f16_e32 v50, v70, v71
	v_fma_f16 v8, v8, s5, v10
	v_fma_f16 v10, v45, s6, v13
	v_sub_f16_e32 v13, v88, v90
	v_fma_f16 v50, v50, -0.5, v64
	v_fma_f16 v8, v45, s6, v8
	v_sub_f16_e32 v45, v80, v89
	v_fma_f16 v59, v13, s7, v50
	v_fma_f16 v50, v13, s4, v50
	;; [unrolled: 1-line block ×6, first 2 shown]
	v_add_f16_e32 v50, v69, v72
	v_add_f16_e32 v46, v46, v62
	v_fma_f16 v50, v50, -0.5, v64
	v_add_f16_e32 v62, v64, v69
	v_sub_f16_e32 v63, v70, v69
	v_sub_f16_e32 v64, v71, v72
	v_add_f16_e32 v62, v62, v70
	v_add_f16_e32 v63, v63, v64
	v_fma_f16 v64, v45, s4, v50
	v_fma_f16 v45, v45, s7, v50
	v_add_f16_e32 v46, v46, v67
	v_add_f16_e32 v62, v62, v71
	v_fma_f16 v50, v13, s10, v64
	v_fma_f16 v13, v13, s5, v45
	;; [unrolled: 4-line block ×3, first 2 shown]
	ds_write_b16 v3, v6
	ds_write_b16 v3, v5 offset:6
	ds_write_b16 v3, v1 offset:12
	ds_write_b16 v3, v0 offset:18
	ds_write_b16 v3, v2 offset:24
	ds_write_b16 v104, v9
	ds_write_b16 v104, v14 offset:6
	ds_write_b16 v104, v7 offset:12
	ds_write_b16 v104, v4 offset:18
	ds_write_b16 v104, v12 offset:24
	;; [unrolled: 5-line block ×4, first 2 shown]
	v_mul_lo_u16_sdwa v0, v16, s11 dst_sel:DWORD dst_unused:UNUSED_PAD src0_sel:BYTE_0 src1_sel:DWORD
	v_lshrrev_b16_e32 v45, 11, v0
	v_mul_lo_u16_e32 v0, 15, v45
	v_sub_u16_e32 v46, v16, v0
	v_lshlrev_b32_sdwa v0, v20, v46 dst_sel:DWORD dst_unused:UNUSED_PAD src0_sel:DWORD src1_sel:BYTE_0
	s_waitcnt lgkmcnt(0)
	s_barrier
	global_load_dwordx4 v[0:3], v0, s[8:9] offset:48
	v_mul_lo_u16_sdwa v4, v24, s11 dst_sel:DWORD dst_unused:UNUSED_PAD src0_sel:BYTE_0 src1_sel:DWORD
	v_lshrrev_b16_e32 v49, 11, v4
	v_mul_lo_u16_e32 v4, 15, v49
	v_sub_u16_e32 v50, v24, v4
	v_lshlrev_b32_sdwa v4, v20, v50 dst_sel:DWORD dst_unused:UNUSED_PAD src0_sel:DWORD src1_sel:BYTE_0
	global_load_dwordx4 v[4:7], v4, s[8:9] offset:48
	s_mov_b32 s11, 0x8889
	v_mul_u32_u24_sdwa v8, v25, s11 dst_sel:DWORD dst_unused:UNUSED_PAD src0_sel:WORD_0 src1_sel:DWORD
	v_lshrrev_b32_e32 v20, 19, v8
	v_mul_lo_u16_e32 v8, 15, v20
	v_sub_u16_e32 v59, v25, v8
	v_lshlrev_b32_e32 v8, 4, v59
	global_load_dwordx4 v[12:15], v8, s[8:9] offset:48
	v_mul_u32_u24_sdwa v8, v26, s11 dst_sel:DWORD dst_unused:UNUSED_PAD src0_sel:WORD_0 src1_sel:DWORD
	v_lshrrev_b32_e32 v62, 19, v8
	v_mul_lo_u16_e32 v8, 15, v62
	v_sub_u16_e32 v63, v26, v8
	v_lshlrev_b32_e32 v8, 4, v63
	global_load_dwordx4 v[8:11], v8, s[8:9] offset:48
	ds_read_u16 v69, v17 offset:1500
	ds_read_u16 v66, v17 offset:1750
	;; [unrolled: 1-line block ×7, first 2 shown]
	v_mul_u32_u24_e32 v45, 0x96, v45
	v_lshlrev_b32_sdwa v46, v29, v46 dst_sel:DWORD dst_unused:UNUSED_PAD src0_sel:DWORD src1_sel:BYTE_0
	s_waitcnt vmcnt(3) lgkmcnt(6)
	v_mul_f16_sdwa v71, v69, v0 dst_sel:DWORD dst_unused:UNUSED_PAD src0_sel:DWORD src1_sel:WORD_1
	v_fma_f16 v79, v61, v0, -v71
	v_mul_u32_u24_sdwa v71, v28, s11 dst_sel:DWORD dst_unused:UNUSED_PAD src0_sel:WORD_0 src1_sel:DWORD
	v_lshrrev_b32_e32 v82, 19, v71
	v_mul_lo_u16_e32 v71, 15, v82
	v_sub_u16_e32 v83, v28, v71
	v_mul_f16_sdwa v61, v61, v0 dst_sel:DWORD dst_unused:UNUSED_PAD src0_sel:DWORD src1_sel:WORD_1
	v_lshlrev_b32_e32 v71, 4, v83
	v_fma_f16 v0, v69, v0, v61
	ds_read_u16 v61, v17 offset:2000
	ds_read_u16 v69, v17 offset:2250
	;; [unrolled: 1-line block ×4, first 2 shown]
	global_load_dwordx4 v[71:74], v71, s[8:9] offset:48
	s_waitcnt lgkmcnt(5)
	v_mul_f16_sdwa v75, v68, v1 dst_sel:DWORD dst_unused:UNUSED_PAD src0_sel:DWORD src1_sel:WORD_1
	v_fma_f16 v84, v60, v1, -v75
	v_mul_f16_sdwa v60, v60, v1 dst_sel:DWORD dst_unused:UNUSED_PAD src0_sel:DWORD src1_sel:WORD_1
	v_fma_f16 v1, v68, v1, v60
	v_mul_u32_u24_sdwa v68, v27, s11 dst_sel:DWORD dst_unused:UNUSED_PAD src0_sel:WORD_0 src1_sel:DWORD
	v_lshrrev_b32_e32 v68, 19, v68
	v_mul_lo_u16_e32 v75, 15, v68
	v_sub_u16_e32 v85, v27, v75
	v_lshlrev_b32_e32 v75, 4, v85
	global_load_dwordx4 v[75:78], v75, s[8:9] offset:48
	ds_read_u16 v60, v17 offset:4000
	ds_read_u16 v86, v17 offset:4500
	;; [unrolled: 1-line block ×8, first 2 shown]
	s_waitcnt lgkmcnt(6)
	v_mul_f16_sdwa v93, v86, v2 dst_sel:DWORD dst_unused:UNUSED_PAD src0_sel:DWORD src1_sel:WORD_1
	v_fma_f16 v93, v58, v2, -v93
	v_mul_f16_sdwa v58, v58, v2 dst_sel:DWORD dst_unused:UNUSED_PAD src0_sel:DWORD src1_sel:WORD_1
	v_fma_f16 v2, v86, v2, v58
	ds_read_u16 v58, v17 offset:6000
	ds_read_u16 v86, v17 offset:6250
	;; [unrolled: 1-line block ×6, first 2 shown]
	s_waitcnt lgkmcnt(5)
	v_mul_f16_sdwa v98, v58, v3 dst_sel:DWORD dst_unused:UNUSED_PAD src0_sel:DWORD src1_sel:WORD_1
	v_fma_f16 v98, v57, v3, -v98
	v_mul_f16_sdwa v57, v57, v3 dst_sel:DWORD dst_unused:UNUSED_PAD src0_sel:DWORD src1_sel:WORD_1
	v_fma_f16 v3, v58, v3, v57
	s_waitcnt vmcnt(4)
	v_mul_f16_sdwa v57, v66, v4 dst_sel:DWORD dst_unused:UNUSED_PAD src0_sel:DWORD src1_sel:WORD_1
	v_fma_f16 v99, v53, v4, -v57
	v_mul_f16_sdwa v53, v53, v4 dst_sel:DWORD dst_unused:UNUSED_PAD src0_sel:DWORD src1_sel:WORD_1
	v_fma_f16 v4, v66, v4, v53
	v_mul_f16_sdwa v53, v67, v5 dst_sel:DWORD dst_unused:UNUSED_PAD src0_sel:DWORD src1_sel:WORD_1
	v_fma_f16 v66, v54, v5, -v53
	v_mul_f16_sdwa v53, v54, v5 dst_sel:DWORD dst_unused:UNUSED_PAD src0_sel:DWORD src1_sel:WORD_1
	v_fma_f16 v5, v67, v5, v53
	v_mul_f16_sdwa v53, v87, v6 dst_sel:DWORD dst_unused:UNUSED_PAD src0_sel:DWORD src1_sel:WORD_1
	v_fma_f16 v67, v55, v6, -v53
	v_mul_f16_sdwa v53, v55, v6 dst_sel:DWORD dst_unused:UNUSED_PAD src0_sel:DWORD src1_sel:WORD_1
	v_fma_f16 v6, v87, v6, v53
	s_waitcnt lgkmcnt(4)
	v_mul_f16_sdwa v53, v86, v7 dst_sel:DWORD dst_unused:UNUSED_PAD src0_sel:DWORD src1_sel:WORD_1
	v_fma_f16 v87, v56, v7, -v53
	v_mul_f16_sdwa v53, v56, v7 dst_sel:DWORD dst_unused:UNUSED_PAD src0_sel:DWORD src1_sel:WORD_1
	v_fma_f16 v7, v86, v7, v53
	s_waitcnt vmcnt(3)
	v_mul_f16_sdwa v53, v61, v12 dst_sel:DWORD dst_unused:UNUSED_PAD src0_sel:DWORD src1_sel:WORD_1
	v_fma_f16 v86, v48, v12, -v53
	v_mul_f16_sdwa v48, v48, v12 dst_sel:DWORD dst_unused:UNUSED_PAD src0_sel:DWORD src1_sel:WORD_1
	v_fma_f16 v12, v61, v12, v48
	v_mul_f16_sdwa v48, v65, v13 dst_sel:DWORD dst_unused:UNUSED_PAD src0_sel:DWORD src1_sel:WORD_1
	v_fma_f16 v100, v42, v13, -v48
	v_mul_f16_sdwa v42, v42, v13 dst_sel:DWORD dst_unused:UNUSED_PAD src0_sel:DWORD src1_sel:WORD_1
	v_fma_f16 v13, v65, v13, v42
	v_mul_f16_sdwa v42, v88, v14 dst_sel:DWORD dst_unused:UNUSED_PAD src0_sel:DWORD src1_sel:WORD_1
	v_fma_f16 v65, v51, v14, -v42
	v_mul_f16_sdwa v42, v51, v14 dst_sel:DWORD dst_unused:UNUSED_PAD src0_sel:DWORD src1_sel:WORD_1
	v_fma_f16 v14, v88, v14, v42
	;; [unrolled: 18-line block ×3, first 2 shown]
	s_waitcnt lgkmcnt(2)
	v_mul_f16_sdwa v39, v95, v11 dst_sel:DWORD dst_unused:UNUSED_PAD src0_sel:DWORD src1_sel:WORD_1
	v_fma_f16 v89, v47, v11, -v39
	v_mul_f16_sdwa v39, v47, v11 dst_sel:DWORD dst_unused:UNUSED_PAD src0_sel:DWORD src1_sel:WORD_1
	v_fma_f16 v11, v95, v11, v39
	v_sub_f16_e32 v47, v13, v14
	v_sub_f16_e32 v48, v65, v88
	;; [unrolled: 1-line block ×4, first 2 shown]
	s_movk_i32 s11, 0x4b
	v_cmp_gt_u32_e32 vcc, s11, v16
	s_movk_i32 s11, 0xdb
	s_waitcnt vmcnt(1)
	v_mul_f16_sdwa v39, v80, v71 dst_sel:DWORD dst_unused:UNUSED_PAD src0_sel:DWORD src1_sel:WORD_1
	v_fma_f16 v95, v38, v71, -v39
	v_mul_f16_sdwa v38, v38, v71 dst_sel:DWORD dst_unused:UNUSED_PAD src0_sel:DWORD src1_sel:WORD_1
	v_fma_f16 v71, v80, v71, v38
	v_mul_f16_sdwa v38, v60, v72 dst_sel:DWORD dst_unused:UNUSED_PAD src0_sel:DWORD src1_sel:WORD_1
	v_fma_f16 v80, v36, v72, -v38
	v_mul_f16_sdwa v36, v36, v72 dst_sel:DWORD dst_unused:UNUSED_PAD src0_sel:DWORD src1_sel:WORD_1
	v_fma_f16 v72, v60, v72, v36
	;; [unrolled: 4-line block ×3, first 2 shown]
	s_waitcnt lgkmcnt(1)
	v_mul_f16_sdwa v36, v96, v74 dst_sel:DWORD dst_unused:UNUSED_PAD src0_sel:DWORD src1_sel:WORD_1
	v_fma_f16 v90, v41, v74, -v36
	v_mul_f16_sdwa v36, v41, v74 dst_sel:DWORD dst_unused:UNUSED_PAD src0_sel:DWORD src1_sel:WORD_1
	v_fma_f16 v74, v96, v74, v36
	s_waitcnt vmcnt(0)
	v_mul_f16_sdwa v36, v81, v75 dst_sel:DWORD dst_unused:UNUSED_PAD src0_sel:DWORD src1_sel:WORD_1
	v_fma_f16 v96, v34, v75, -v36
	v_mul_f16_sdwa v34, v34, v75 dst_sel:DWORD dst_unused:UNUSED_PAD src0_sel:DWORD src1_sel:WORD_1
	v_mul_f16_sdwa v36, v92, v76 dst_sel:DWORD dst_unused:UNUSED_PAD src0_sel:DWORD src1_sel:WORD_1
	v_fma_f16 v34, v81, v75, v34
	v_fma_f16 v75, v37, v76, -v36
	v_mul_f16_sdwa v36, v37, v76 dst_sel:DWORD dst_unused:UNUSED_PAD src0_sel:DWORD src1_sel:WORD_1
	v_fma_f16 v76, v92, v76, v36
	v_mul_f16_sdwa v36, v91, v77 dst_sel:DWORD dst_unused:UNUSED_PAD src0_sel:DWORD src1_sel:WORD_1
	v_fma_f16 v81, v33, v77, -v36
	v_mul_f16_sdwa v33, v33, v77 dst_sel:DWORD dst_unused:UNUSED_PAD src0_sel:DWORD src1_sel:WORD_1
	v_fma_f16 v77, v91, v77, v33
	s_waitcnt lgkmcnt(0)
	v_mul_f16_sdwa v33, v97, v78 dst_sel:DWORD dst_unused:UNUSED_PAD src0_sel:DWORD src1_sel:WORD_1
	v_fma_f16 v91, v35, v78, -v33
	v_mul_f16_sdwa v33, v35, v78 dst_sel:DWORD dst_unused:UNUSED_PAD src0_sel:DWORD src1_sel:WORD_1
	v_fma_f16 v78, v97, v78, v33
	v_sub_f16_e32 v33, v79, v84
	v_sub_f16_e32 v35, v98, v93
	v_add_f16_e32 v33, v33, v35
	v_add_f16_e32 v35, v84, v93
	v_fma_f16 v35, v35, -0.5, v32
	v_sub_f16_e32 v36, v0, v3
	v_fma_f16 v37, v36, s4, v35
	v_sub_f16_e32 v38, v1, v2
	v_fma_f16 v35, v36, s7, v35
	v_fma_f16 v37, v38, s5, v37
	v_fma_f16 v35, v38, s10, v35
	v_fma_f16 v37, v33, s6, v37
	v_fma_f16 v33, v33, s6, v35
	v_sub_f16_e32 v35, v84, v79
	v_sub_f16_e32 v39, v93, v98
	v_add_f16_e32 v35, v35, v39
	v_add_f16_e32 v39, v79, v98
	v_fma_f16 v39, v39, -0.5, v32
	v_fma_f16 v40, v38, s7, v39
	v_fma_f16 v38, v38, s4, v39
	v_add_f16_e32 v32, v32, v79
	v_fma_f16 v39, v36, s5, v40
	v_fma_f16 v36, v36, s10, v38
	v_add_f16_e32 v32, v32, v84
	v_sub_f16_e32 v40, v0, v1
	v_sub_f16_e32 v41, v3, v2
	v_fma_f16 v38, v35, s6, v39
	v_fma_f16 v35, v35, s6, v36
	v_add_f16_e32 v32, v32, v93
	v_sub_f16_e32 v36, v79, v98
	v_sub_f16_e32 v39, v84, v93
	v_add_f16_e32 v40, v40, v41
	v_add_f16_e32 v41, v1, v2
	ds_read_u16 v42, v17
	ds_read_u16 v79, v17 offset:250
	ds_read_u16 v84, v17 offset:500
	;; [unrolled: 1-line block ×4, first 2 shown]
	s_waitcnt lgkmcnt(4)
	v_fma_f16 v41, v41, -0.5, v42
	v_fma_f16 v43, v36, s7, v41
	v_fma_f16 v41, v36, s4, v41
	;; [unrolled: 1-line block ×3, first 2 shown]
	v_add_f16_e32 v32, v32, v98
	v_fma_f16 v43, v39, s10, v43
	v_fma_f16 v98, v40, s6, v41
	v_add_f16_e32 v41, v42, v0
	v_fma_f16 v97, v40, s6, v43
	v_add_f16_e32 v40, v0, v3
	v_add_f16_e32 v41, v41, v1
	v_fma_f16 v40, v40, -0.5, v42
	v_sub_f16_e32 v0, v1, v0
	v_add_f16_e32 v1, v41, v2
	v_sub_f16_e32 v2, v2, v3
	v_add_f16_e32 v1, v1, v3
	v_add_f16_e32 v0, v0, v2
	v_fma_f16 v2, v39, s4, v40
	v_fma_f16 v3, v39, s7, v40
	;; [unrolled: 1-line block ×6, first 2 shown]
	v_sub_f16_e32 v3, v99, v66
	v_sub_f16_e32 v36, v87, v67
	v_add_f16_e32 v3, v3, v36
	v_add_f16_e32 v36, v66, v67
	v_fma_f16 v36, v36, -0.5, v31
	v_sub_f16_e32 v39, v4, v7
	v_fma_f16 v40, v39, s4, v36
	v_sub_f16_e32 v41, v5, v6
	v_fma_f16 v36, v39, s7, v36
	v_fma_f16 v40, v41, s5, v40
	;; [unrolled: 1-line block ×5, first 2 shown]
	v_sub_f16_e32 v36, v66, v99
	v_sub_f16_e32 v42, v67, v87
	v_add_f16_e32 v36, v36, v42
	v_add_f16_e32 v42, v99, v87
	v_fma_f16 v42, v42, -0.5, v31
	v_fma_f16 v43, v41, s7, v42
	v_fma_f16 v41, v41, s4, v42
	;; [unrolled: 1-line block ×6, first 2 shown]
	v_sub_f16_e32 v39, v86, v100
	v_sub_f16_e32 v42, v88, v65
	v_add_f16_e32 v39, v39, v42
	v_add_f16_e32 v42, v100, v65
	v_fma_f16 v42, v42, -0.5, v30
	v_sub_f16_e32 v43, v12, v15
	v_fma_f16 v44, v43, s4, v42
	v_fma_f16 v42, v43, s7, v42
	;; [unrolled: 1-line block ×6, first 2 shown]
	v_sub_f16_e32 v42, v100, v86
	v_add_f16_e32 v42, v42, v48
	v_add_f16_e32 v48, v86, v88
	v_fma_f16 v48, v48, -0.5, v30
	v_fma_f16 v51, v47, s7, v48
	v_fma_f16 v47, v47, s4, v48
	;; [unrolled: 1-line block ×6, first 2 shown]
	v_sub_f16_e32 v43, v94, v69
	v_sub_f16_e32 v48, v89, v64
	v_add_f16_e32 v43, v43, v48
	v_add_f16_e32 v48, v69, v64
	v_fma_f16 v48, v48, -0.5, v23
	v_sub_f16_e32 v51, v8, v11
	v_fma_f16 v52, v51, s4, v48
	v_fma_f16 v48, v51, s7, v48
	;; [unrolled: 1-line block ×6, first 2 shown]
	v_sub_f16_e32 v48, v69, v94
	v_add_f16_e32 v48, v48, v54
	v_add_f16_e32 v54, v94, v89
	v_fma_f16 v54, v54, -0.5, v23
	v_fma_f16 v55, v53, s7, v54
	v_fma_f16 v53, v53, s4, v54
	;; [unrolled: 1-line block ×6, first 2 shown]
	v_sub_f16_e32 v51, v95, v80
	v_sub_f16_e32 v54, v90, v101
	v_add_f16_e32 v51, v51, v54
	v_add_f16_e32 v54, v80, v101
	v_fma_f16 v54, v54, -0.5, v22
	v_sub_f16_e32 v55, v71, v74
	v_fma_f16 v56, v55, s4, v54
	v_sub_f16_e32 v57, v72, v73
	v_fma_f16 v54, v55, s7, v54
	v_fma_f16 v56, v57, s5, v56
	;; [unrolled: 1-line block ×5, first 2 shown]
	v_sub_f16_e32 v54, v80, v95
	v_sub_f16_e32 v58, v101, v90
	v_add_f16_e32 v54, v54, v58
	v_add_f16_e32 v58, v95, v90
	v_fma_f16 v58, v58, -0.5, v22
	v_fma_f16 v60, v57, s7, v58
	v_fma_f16 v57, v57, s4, v58
	;; [unrolled: 1-line block ×6, first 2 shown]
	v_sub_f16_e32 v55, v96, v75
	v_sub_f16_e32 v58, v91, v81
	v_add_f16_e32 v55, v55, v58
	v_add_f16_e32 v58, v75, v81
	v_fma_f16 v58, v58, -0.5, v21
	v_sub_f16_e32 v60, v34, v78
	v_fma_f16 v61, v60, s4, v58
	v_sub_f16_e32 v102, v76, v77
	v_fma_f16 v58, v60, s7, v58
	v_fma_f16 v61, v102, s5, v61
	;; [unrolled: 1-line block ×5, first 2 shown]
	v_sub_f16_e32 v58, v75, v96
	v_sub_f16_e32 v103, v81, v91
	v_add_f16_e32 v58, v58, v103
	v_add_f16_e32 v103, v96, v91
	v_fma_f16 v103, v103, -0.5, v21
	v_fma_f16 v104, v102, s7, v103
	v_fma_f16 v102, v102, s4, v103
	;; [unrolled: 1-line block ×3, first 2 shown]
	v_add_f16_e32 v31, v31, v99
	v_fma_f16 v60, v60, s10, v102
	v_fma_f16 v102, v58, s6, v103
	v_add3_u32 v103, 0, v45, v46
	v_add_f16_e32 v31, v31, v66
	s_waitcnt lgkmcnt(0)
	s_barrier
	ds_write_b16 v103, v32
	ds_write_b16 v103, v37 offset:30
	ds_write_b16 v103, v38 offset:60
	;; [unrolled: 1-line block ×4, first 2 shown]
	v_mul_u32_u24_e32 v32, 0x96, v49
	v_lshlrev_b32_sdwa v33, v29, v50 dst_sel:DWORD dst_unused:UNUSED_PAD src0_sel:DWORD src1_sel:BYTE_0
	v_add_f16_e32 v31, v31, v67
	v_add3_u32 v32, 0, v32, v33
	v_add_f16_e32 v31, v31, v87
	ds_write_b16 v32, v31
	ds_write_b16 v32, v40 offset:30
	ds_write_b16 v32, v41 offset:60
	ds_write_b16 v32, v36 offset:90
	ds_write_b16 v32, v3 offset:120
	v_mul_u32_u24_e32 v3, 0x96, v20
	v_lshlrev_b32_e32 v20, 1, v59
	v_add3_u32 v3, 0, v3, v20
	v_add_f16_e32 v20, v30, v86
	v_add_f16_e32 v20, v20, v100
	;; [unrolled: 1-line block ×6, first 2 shown]
	ds_write_b16 v3, v20
	ds_write_b16 v3, v44 offset:30
	ds_write_b16 v3, v47 offset:60
	;; [unrolled: 1-line block ×4, first 2 shown]
	v_mul_u32_u24_e32 v20, 0x96, v62
	v_lshlrev_b32_e32 v30, 1, v63
	v_add_f16_e32 v23, v23, v64
	v_add_f16_e32 v22, v22, v95
	v_add3_u32 v20, 0, v20, v30
	v_add_f16_e32 v23, v23, v89
	v_add_f16_e32 v22, v22, v80
	ds_write_b16 v20, v23
	ds_write_b16 v20, v52 offset:30
	ds_write_b16 v20, v53 offset:60
	;; [unrolled: 1-line block ×4, first 2 shown]
	v_mul_u32_u24_e32 v23, 0x96, v82
	v_lshlrev_b32_e32 v30, 1, v83
	v_add_f16_e32 v22, v22, v101
	v_add_f16_e32 v21, v21, v96
	v_add3_u32 v23, 0, v23, v30
	v_add_f16_e32 v22, v22, v90
	v_add_f16_e32 v21, v21, v75
	ds_write_b16 v23, v22
	ds_write_b16 v23, v56 offset:30
	ds_write_b16 v23, v57 offset:60
	ds_write_b16 v23, v54 offset:90
	ds_write_b16 v23, v51 offset:120
	v_mul_u32_u24_e32 v22, 0x96, v68
	v_lshlrev_b32_e32 v30, 1, v85
	v_add_f16_e32 v21, v21, v81
	v_fma_f16 v58, v58, s6, v60
	v_add3_u32 v22, 0, v22, v30
	v_add_f16_e32 v21, v21, v91
	ds_write_b16 v22, v21
	ds_write_b16 v22, v61 offset:30
	ds_write_b16 v22, v102 offset:60
	;; [unrolled: 1-line block ×4, first 2 shown]
	s_waitcnt lgkmcnt(0)
	s_barrier
	ds_read_u16 v33, v17
	ds_read_u16 v31, v17 offset:250
	ds_read_u16 v45, v17 offset:4000
	;; [unrolled: 1-line block ×29, first 2 shown]
	s_waitcnt lgkmcnt(0)
	s_barrier
	ds_write_b16 v103, v1
	ds_write_b16 v103, v97 offset:30
	ds_write_b16 v103, v2 offset:60
	;; [unrolled: 1-line block ×4, first 2 shown]
	v_sub_f16_e32 v2, v4, v5
	v_sub_f16_e32 v21, v7, v6
	v_add_f16_e32 v2, v2, v21
	v_add_f16_e32 v21, v5, v6
	v_sub_f16_e32 v0, v99, v87
	v_fma_f16 v21, v21, -0.5, v79
	v_sub_f16_e32 v1, v66, v67
	v_fma_f16 v62, v0, s7, v21
	v_fma_f16 v21, v0, s4, v21
	;; [unrolled: 1-line block ×4, first 2 shown]
	v_add_f16_e32 v63, v79, v4
	v_fma_f16 v62, v2, s6, v62
	v_fma_f16 v2, v2, s6, v21
	v_add_f16_e32 v21, v4, v7
	v_add_f16_e32 v63, v63, v5
	v_fma_f16 v21, v21, -0.5, v79
	v_sub_f16_e32 v4, v5, v4
	v_add_f16_e32 v5, v63, v6
	v_sub_f16_e32 v6, v6, v7
	v_add_f16_e32 v4, v4, v6
	v_fma_f16 v6, v1, s4, v21
	v_fma_f16 v1, v1, s7, v21
	v_add_f16_e32 v5, v5, v7
	v_fma_f16 v6, v0, s10, v6
	v_fma_f16 v0, v0, s5, v1
	;; [unrolled: 1-line block ×4, first 2 shown]
	ds_write_b16 v32, v5
	ds_write_b16 v32, v62 offset:30
	ds_write_b16 v32, v1 offset:60
	;; [unrolled: 1-line block ×4, first 2 shown]
	v_sub_f16_e32 v2, v12, v13
	v_sub_f16_e32 v4, v15, v14
	v_add_f16_e32 v2, v2, v4
	v_add_f16_e32 v4, v13, v14
	v_sub_f16_e32 v0, v86, v88
	v_fma_f16 v4, v4, -0.5, v84
	v_sub_f16_e32 v1, v100, v65
	v_fma_f16 v5, v0, s7, v4
	v_fma_f16 v4, v0, s4, v4
	;; [unrolled: 1-line block ×6, first 2 shown]
	v_add_f16_e32 v4, v12, v15
	v_fma_f16 v4, v4, -0.5, v84
	v_add_f16_e32 v6, v84, v12
	v_sub_f16_e32 v7, v13, v12
	v_sub_f16_e32 v12, v14, v15
	v_add_f16_e32 v7, v7, v12
	v_fma_f16 v12, v1, s4, v4
	v_add_f16_e32 v6, v6, v13
	v_fma_f16 v1, v1, s7, v4
	v_fma_f16 v4, v0, s10, v12
	v_sub_f16_e32 v12, v8, v9
	v_sub_f16_e32 v13, v11, v10
	v_add_f16_e32 v12, v12, v13
	v_add_f16_e32 v13, v9, v10
	v_fma_f16 v0, v0, s5, v1
	v_fma_f16 v1, v7, s6, v4
	v_sub_f16_e32 v4, v94, v89
	v_fma_f16 v13, v13, -0.5, v92
	v_add_f16_e32 v6, v6, v14
	v_fma_f16 v0, v7, s6, v0
	v_sub_f16_e32 v7, v69, v64
	v_fma_f16 v14, v4, s7, v13
	v_fma_f16 v13, v4, s4, v13
	v_add_f16_e32 v6, v6, v15
	v_fma_f16 v14, v7, s10, v14
	v_fma_f16 v13, v7, s5, v13
	v_add_f16_e32 v15, v92, v8
	;; [unrolled: 3-line block ×3, first 2 shown]
	v_add_f16_e32 v15, v15, v9
	v_fma_f16 v13, v13, -0.5, v92
	v_sub_f16_e32 v8, v9, v8
	v_add_f16_e32 v9, v15, v10
	v_sub_f16_e32 v10, v10, v11
	v_add_f16_e32 v9, v9, v11
	v_add_f16_e32 v8, v8, v10
	v_fma_f16 v10, v7, s4, v13
	v_fma_f16 v7, v7, s7, v13
	v_sub_f16_e32 v11, v71, v72
	v_sub_f16_e32 v13, v74, v73
	v_fma_f16 v10, v4, s10, v10
	v_fma_f16 v4, v4, s5, v7
	v_add_f16_e32 v11, v11, v13
	v_add_f16_e32 v13, v72, v73
	v_fma_f16 v7, v8, s6, v10
	v_fma_f16 v4, v8, s6, v4
	v_sub_f16_e32 v8, v95, v90
	v_fma_f16 v13, v13, -0.5, v93
	v_sub_f16_e32 v10, v80, v101
	v_fma_f16 v15, v8, s7, v13
	v_fma_f16 v13, v8, s4, v13
	;; [unrolled: 1-line block ×6, first 2 shown]
	v_add_f16_e32 v13, v71, v74
	v_fma_f16 v13, v13, -0.5, v93
	v_sub_f16_e32 v32, v72, v71
	v_sub_f16_e32 v62, v73, v74
	v_add_f16_e32 v32, v32, v62
	v_fma_f16 v62, v10, s4, v13
	v_fma_f16 v10, v10, s7, v13
	;; [unrolled: 1-line block ×3, first 2 shown]
	v_sub_f16_e32 v62, v34, v76
	v_sub_f16_e32 v63, v78, v77
	v_add_f16_e32 v62, v62, v63
	v_add_f16_e32 v63, v76, v77
	v_fma_f16 v8, v8, s5, v10
	v_fma_f16 v10, v32, s6, v13
	v_sub_f16_e32 v13, v96, v91
	v_fma_f16 v63, v63, -0.5, v70
	v_fma_f16 v8, v32, s6, v8
	v_sub_f16_e32 v32, v75, v81
	v_fma_f16 v64, v13, s7, v63
	v_fma_f16 v63, v13, s4, v63
	;; [unrolled: 1-line block ×6, first 2 shown]
	v_add_f16_e32 v63, v34, v78
	v_add_f16_e32 v21, v93, v71
	v_fma_f16 v63, v63, -0.5, v70
	v_add_f16_e32 v65, v70, v34
	v_sub_f16_e32 v34, v76, v34
	v_sub_f16_e32 v66, v77, v78
	v_add_f16_e32 v21, v21, v72
	v_add_f16_e32 v65, v65, v76
	;; [unrolled: 1-line block ×3, first 2 shown]
	v_fma_f16 v66, v32, s4, v63
	v_fma_f16 v32, v32, s7, v63
	v_add_f16_e32 v21, v21, v73
	v_add_f16_e32 v65, v65, v77
	v_fma_f16 v63, v13, s10, v66
	v_fma_f16 v13, v13, s5, v32
	v_add_f16_e32 v21, v21, v74
	v_add_f16_e32 v65, v65, v78
	v_fma_f16 v32, v34, s6, v63
	v_fma_f16 v13, v34, s6, v13
	ds_write_b16 v3, v6
	ds_write_b16 v3, v5 offset:30
	ds_write_b16 v3, v1 offset:60
	ds_write_b16 v3, v0 offset:90
	ds_write_b16 v3, v2 offset:120
	ds_write_b16 v20, v9
	ds_write_b16 v20, v14 offset:30
	ds_write_b16 v20, v7 offset:60
	ds_write_b16 v20, v4 offset:90
	ds_write_b16 v20, v12 offset:120
	;; [unrolled: 5-line block ×4, first 2 shown]
	v_add_u32_e32 v0, 0xffffffb5, v16
	v_cndmask_b32_e32 v32, v0, v16, vcc
	v_mul_i32_i24_e32 v20, 9, v32
	v_mov_b32_e32 v21, 0
	v_lshlrev_b64 v[0:1], 2, v[20:21]
	v_mov_b32_e32 v2, s9
	v_add_co_u32_e32 v22, vcc, s8, v0
	v_addc_co_u32_e32 v23, vcc, v2, v1, vcc
	s_waitcnt lgkmcnt(0)
	s_barrier
	global_load_dwordx4 v[4:7], v[22:23], off offset:288
	global_load_dwordx4 v[0:3], v[22:23], off offset:304
	v_mul_lo_u16_sdwa v8, v24, s11 dst_sel:DWORD dst_unused:UNUSED_PAD src0_sel:BYTE_0 src1_sel:DWORD
	v_lshrrev_b16_e32 v20, 14, v8
	v_mul_lo_u16_e32 v8, 0x4b, v20
	v_sub_u16_e32 v34, v24, v8
	v_mov_b32_e32 v8, 9
	v_mul_u32_u24_sdwa v8, v34, v8 dst_sel:DWORD dst_unused:UNUSED_PAD src0_sel:BYTE_0 src1_sel:DWORD
	v_lshlrev_b32_e32 v62, 2, v8
	global_load_dwordx4 v[8:11], v62, s[8:9] offset:288
	global_load_dwordx4 v[12:15], v62, s[8:9] offset:304
	ds_read_u16 v67, v17 offset:750
	ds_read_u16 v64, v17 offset:1000
	;; [unrolled: 1-line block ×6, first 2 shown]
	s_mov_b32 s11, 0xb4e9
	v_cmp_lt_u32_e32 vcc, s12, v16
	v_lshlrev_b32_e32 v32, 1, v32
	s_waitcnt vmcnt(3) lgkmcnt(5)
	v_mul_f16_sdwa v69, v67, v4 dst_sel:DWORD dst_unused:UNUSED_PAD src0_sel:DWORD src1_sel:WORD_1
	v_fma_f16 v73, v61, v4, -v69
	v_mul_f16_sdwa v61, v61, v4 dst_sel:DWORD dst_unused:UNUSED_PAD src0_sel:DWORD src1_sel:WORD_1
	v_fma_f16 v67, v67, v4, v61
	s_waitcnt lgkmcnt(2)
	v_mul_f16_sdwa v4, v66, v5 dst_sel:DWORD dst_unused:UNUSED_PAD src0_sel:DWORD src1_sel:WORD_1
	v_fma_f16 v74, v60, v5, -v4
	v_mul_f16_sdwa v4, v60, v5 dst_sel:DWORD dst_unused:UNUSED_PAD src0_sel:DWORD src1_sel:WORD_1
	v_fma_f16 v75, v66, v5, v4
	v_mul_u32_u24_sdwa v5, v25, s11 dst_sel:DWORD dst_unused:UNUSED_PAD src0_sel:WORD_0 src1_sel:DWORD
	v_sub_u16_sdwa v61, v25, v5 dst_sel:DWORD dst_unused:UNUSED_PAD src0_sel:DWORD src1_sel:WORD_1
	v_lshrrev_b16_e32 v61, 1, v61
	v_add_u16_sdwa v5, v61, v5 dst_sel:DWORD dst_unused:UNUSED_PAD src0_sel:DWORD src1_sel:WORD_1
	v_lshrrev_b16_e32 v76, 6, v5
	v_mul_lo_u16_e32 v5, 0x4b, v76
	ds_read_u16 v4, v17 offset:2250
	ds_read_u16 v60, v17 offset:2500
	v_sub_u16_e32 v77, v25, v5
	v_mul_u32_u24_e32 v5, 9, v77
	v_lshlrev_b32_e32 v61, 2, v5
	global_load_dwordx4 v[69:72], v61, s[8:9] offset:288
	ds_read_u16 v66, v17 offset:3750
	ds_read_u16 v78, v17 offset:3500
	;; [unrolled: 1-line block ×6, first 2 shown]
	s_waitcnt lgkmcnt(7)
	v_mul_f16_sdwa v82, v4, v6 dst_sel:DWORD dst_unused:UNUSED_PAD src0_sel:DWORD src1_sel:WORD_1
	v_fma_f16 v82, v59, v6, -v82
	v_mul_f16_sdwa v59, v59, v6 dst_sel:DWORD dst_unused:UNUSED_PAD src0_sel:DWORD src1_sel:WORD_1
	v_fma_f16 v83, v4, v6, v59
	s_waitcnt lgkmcnt(2)
	v_mul_f16_sdwa v4, v5, v7 dst_sel:DWORD dst_unused:UNUSED_PAD src0_sel:DWORD src1_sel:WORD_1
	v_fma_f16 v84, v58, v7, -v4
	v_mul_f16_sdwa v4, v58, v7 dst_sel:DWORD dst_unused:UNUSED_PAD src0_sel:DWORD src1_sel:WORD_1
	v_fma_f16 v85, v5, v7, v4
	s_waitcnt vmcnt(3)
	v_mul_f16_sdwa v4, v66, v0 dst_sel:DWORD dst_unused:UNUSED_PAD src0_sel:DWORD src1_sel:WORD_1
	v_fma_f16 v86, v56, v0, -v4
	global_load_dwordx4 v[4:7], v61, s[8:9] offset:304
	v_mul_f16_sdwa v56, v56, v0 dst_sel:DWORD dst_unused:UNUSED_PAD src0_sel:DWORD src1_sel:WORD_1
	v_fma_f16 v0, v66, v0, v56
	ds_read_u16 v56, v17 offset:4500
	ds_read_u16 v59, v17 offset:4750
	;; [unrolled: 1-line block ×8, first 2 shown]
	s_waitcnt lgkmcnt(7)
	v_mul_f16_sdwa v91, v56, v1 dst_sel:DWORD dst_unused:UNUSED_PAD src0_sel:DWORD src1_sel:WORD_1
	v_fma_f16 v91, v57, v1, -v91
	v_mul_f16_sdwa v57, v57, v1 dst_sel:DWORD dst_unused:UNUSED_PAD src0_sel:DWORD src1_sel:WORD_1
	v_fma_f16 v1, v56, v1, v57
	s_waitcnt lgkmcnt(2)
	v_mul_f16_sdwa v56, v58, v2 dst_sel:DWORD dst_unused:UNUSED_PAD src0_sel:DWORD src1_sel:WORD_1
	global_load_dword v22, v[22:23], off offset:320
	v_fma_f16 v23, v55, v2, -v56
	global_load_dword v56, v62, s[8:9] offset:320
	global_load_dword v92, v61, s[8:9] offset:320
	v_mul_f16_sdwa v55, v55, v2 dst_sel:DWORD dst_unused:UNUSED_PAD src0_sel:DWORD src1_sel:WORD_1
	v_fma_f16 v2, v58, v2, v55
	ds_read_u16 v55, v17 offset:6000
	ds_read_u16 v62, v17 offset:6250
	;; [unrolled: 1-line block ×6, first 2 shown]
	s_waitcnt lgkmcnt(5)
	v_mul_f16_sdwa v57, v55, v3 dst_sel:DWORD dst_unused:UNUSED_PAD src0_sel:DWORD src1_sel:WORD_1
	v_fma_f16 v97, v51, v3, -v57
	v_mul_f16_sdwa v51, v51, v3 dst_sel:DWORD dst_unused:UNUSED_PAD src0_sel:DWORD src1_sel:WORD_1
	v_fma_f16 v3, v55, v3, v51
	s_waitcnt vmcnt(6)
	v_mul_f16_sdwa v51, v64, v8 dst_sel:DWORD dst_unused:UNUSED_PAD src0_sel:DWORD src1_sel:WORD_1
	v_fma_f16 v98, v52, v8, -v51
	v_mul_f16_sdwa v51, v52, v8 dst_sel:DWORD dst_unused:UNUSED_PAD src0_sel:DWORD src1_sel:WORD_1
	v_fma_f16 v51, v64, v8, v51
	v_mul_f16_sdwa v8, v63, v9 dst_sel:DWORD dst_unused:UNUSED_PAD src0_sel:DWORD src1_sel:WORD_1
	v_fma_f16 v61, v48, v9, -v8
	v_mul_f16_sdwa v8, v48, v9 dst_sel:DWORD dst_unused:UNUSED_PAD src0_sel:DWORD src1_sel:WORD_1
	v_fma_f16 v55, v63, v9, v8
	v_mul_f16_sdwa v9, v54, v10 dst_sel:DWORD dst_unused:UNUSED_PAD src0_sel:DWORD src1_sel:WORD_1
	v_fma_f16 v52, v60, v10, v9
	v_mul_f16_sdwa v9, v79, v11 dst_sel:DWORD dst_unused:UNUSED_PAD src0_sel:DWORD src1_sel:WORD_1
	v_mul_f16_sdwa v8, v60, v10 dst_sel:DWORD dst_unused:UNUSED_PAD src0_sel:DWORD src1_sel:WORD_1
	v_fma_f16 v64, v50, v11, -v9
	v_mul_f16_sdwa v9, v50, v11 dst_sel:DWORD dst_unused:UNUSED_PAD src0_sel:DWORD src1_sel:WORD_1
	v_fma_f16 v8, v54, v10, -v8
	v_fma_f16 v58, v79, v11, v9
	s_waitcnt vmcnt(5)
	v_mul_f16_sdwa v9, v66, v12 dst_sel:DWORD dst_unused:UNUSED_PAD src0_sel:DWORD src1_sel:WORD_1
	v_mul_f16_sdwa v10, v45, v12 dst_sel:DWORD dst_unused:UNUSED_PAD src0_sel:DWORD src1_sel:WORD_1
	v_fma_f16 v9, v45, v12, -v9
	v_fma_f16 v54, v66, v12, v10
	v_mul_f16_sdwa v10, v59, v13 dst_sel:DWORD dst_unused:UNUSED_PAD src0_sel:DWORD src1_sel:WORD_1
	v_fma_f16 v66, v53, v13, -v10
	v_mul_f16_sdwa v10, v53, v13 dst_sel:DWORD dst_unused:UNUSED_PAD src0_sel:DWORD src1_sel:WORD_1
	v_fma_f16 v60, v59, v13, v10
	v_mul_f16_sdwa v10, v87, v14 dst_sel:DWORD dst_unused:UNUSED_PAD src0_sel:DWORD src1_sel:WORD_1
	v_mul_f16_sdwa v11, v49, v14 dst_sel:DWORD dst_unused:UNUSED_PAD src0_sel:DWORD src1_sel:WORD_1
	v_fma_f16 v10, v49, v14, -v10
	v_fma_f16 v57, v87, v14, v11
	s_waitcnt lgkmcnt(4)
	v_mul_f16_sdwa v11, v62, v15 dst_sel:DWORD dst_unused:UNUSED_PAD src0_sel:DWORD src1_sel:WORD_1
	v_fma_f16 v79, v40, v15, -v11
	v_mul_f16_sdwa v11, v40, v15 dst_sel:DWORD dst_unused:UNUSED_PAD src0_sel:DWORD src1_sel:WORD_1
	v_fma_f16 v62, v62, v15, v11
	ds_read_u16 v40, v17
	s_movk_i32 s11, 0x3a79
	s_waitcnt vmcnt(4)
	v_mul_f16_sdwa v12, v41, v69 dst_sel:DWORD dst_unused:UNUSED_PAD src0_sel:DWORD src1_sel:WORD_1
	v_fma_f16 v45, v65, v69, v12
	v_mul_f16_sdwa v12, v81, v70 dst_sel:DWORD dst_unused:UNUSED_PAD src0_sel:DWORD src1_sel:WORD_1
	v_fma_f16 v50, v47, v70, -v12
	v_mul_f16_sdwa v12, v47, v70 dst_sel:DWORD dst_unused:UNUSED_PAD src0_sel:DWORD src1_sel:WORD_1
	v_fma_f16 v47, v81, v70, v12
	v_mul_f16_sdwa v12, v80, v71 dst_sel:DWORD dst_unused:UNUSED_PAD src0_sel:DWORD src1_sel:WORD_1
	v_mul_f16_sdwa v13, v44, v71 dst_sel:DWORD dst_unused:UNUSED_PAD src0_sel:DWORD src1_sel:WORD_1
	v_fma_f16 v12, v44, v71, -v12
	v_fma_f16 v44, v80, v71, v13
	v_mul_f16_sdwa v13, v78, v72 dst_sel:DWORD dst_unused:UNUSED_PAD src0_sel:DWORD src1_sel:WORD_1
	v_fma_f16 v53, v38, v72, -v13
	v_mul_f16_sdwa v13, v38, v72 dst_sel:DWORD dst_unused:UNUSED_PAD src0_sel:DWORD src1_sel:WORD_1
	v_fma_f16 v48, v78, v72, v13
	s_waitcnt vmcnt(3)
	v_mul_f16_sdwa v13, v90, v4 dst_sel:DWORD dst_unused:UNUSED_PAD src0_sel:DWORD src1_sel:WORD_1
	v_mul_f16_sdwa v14, v46, v4 dst_sel:DWORD dst_unused:UNUSED_PAD src0_sel:DWORD src1_sel:WORD_1
	v_fma_f16 v13, v46, v4, -v13
	v_fma_f16 v46, v90, v4, v14
	v_mul_f16_sdwa v4, v89, v5 dst_sel:DWORD dst_unused:UNUSED_PAD src0_sel:DWORD src1_sel:WORD_1
	v_fma_f16 v59, v42, v5, -v4
	v_mul_f16_sdwa v4, v42, v5 dst_sel:DWORD dst_unused:UNUSED_PAD src0_sel:DWORD src1_sel:WORD_1
	v_fma_f16 v49, v89, v5, v4
	v_mul_f16_sdwa v5, v37, v6 dst_sel:DWORD dst_unused:UNUSED_PAD src0_sel:DWORD src1_sel:WORD_1
	v_fma_f16 v42, v88, v6, v5
	s_waitcnt lgkmcnt(4)
	v_mul_f16_sdwa v5, v93, v7 dst_sel:DWORD dst_unused:UNUSED_PAD src0_sel:DWORD src1_sel:WORD_1
	v_mul_f16_sdwa v4, v88, v6 dst_sel:DWORD dst_unused:UNUSED_PAD src0_sel:DWORD src1_sel:WORD_1
	v_fma_f16 v63, v43, v7, -v5
	v_mul_f16_sdwa v5, v43, v7 dst_sel:DWORD dst_unused:UNUSED_PAD src0_sel:DWORD src1_sel:WORD_1
	v_fma_f16 v4, v37, v6, -v4
	v_fma_f16 v43, v93, v7, v5
	s_waitcnt vmcnt(2) lgkmcnt(3)
	v_mul_f16_sdwa v5, v94, v22 dst_sel:DWORD dst_unused:UNUSED_PAD src0_sel:DWORD src1_sel:WORD_1
	v_mul_f16_sdwa v6, v39, v22 dst_sel:DWORD dst_unused:UNUSED_PAD src0_sel:DWORD src1_sel:WORD_1
	s_waitcnt vmcnt(1) lgkmcnt(2)
	v_mul_f16_sdwa v7, v95, v56 dst_sel:DWORD dst_unused:UNUSED_PAD src0_sel:DWORD src1_sel:WORD_1
	v_mul_f16_sdwa v14, v36, v56 dst_sel:DWORD dst_unused:UNUSED_PAD src0_sel:DWORD src1_sel:WORD_1
	s_waitcnt vmcnt(0)
	v_mul_f16_sdwa v15, v35, v92 dst_sel:DWORD dst_unused:UNUSED_PAD src0_sel:DWORD src1_sel:WORD_1
	v_mul_f16_sdwa v11, v65, v69 dst_sel:DWORD dst_unused:UNUSED_PAD src0_sel:DWORD src1_sel:WORD_1
	v_fma_f16 v5, v39, v22, -v5
	v_fma_f16 v6, v94, v22, v6
	v_fma_f16 v7, v36, v56, -v7
	v_fma_f16 v65, v95, v56, v14
	s_waitcnt lgkmcnt(1)
	v_fma_f16 v56, v96, v92, v15
	v_sub_f16_e32 v15, v74, v84
	v_sub_f16_e32 v22, v97, v91
	v_mul_f16_sdwa v14, v96, v92 dst_sel:DWORD dst_unused:UNUSED_PAD src0_sel:DWORD src1_sel:WORD_1
	v_add_f16_e32 v15, v15, v22
	v_add_f16_e32 v22, v84, v91
	v_fma_f16 v14, v35, v92, -v14
	v_fma_f16 v22, v22, -0.5, v33
	v_sub_f16_e32 v35, v75, v3
	v_fma_f16 v36, v35, s4, v22
	v_sub_f16_e32 v37, v85, v1
	v_fma_f16 v22, v35, s7, v22
	v_fma_f16 v36, v37, s5, v36
	v_fma_f16 v22, v37, s10, v22
	v_fma_f16 v36, v15, s6, v36
	v_fma_f16 v15, v15, s6, v22
	v_sub_f16_e32 v22, v84, v74
	v_sub_f16_e32 v38, v91, v97
	v_add_f16_e32 v22, v22, v38
	v_add_f16_e32 v38, v74, v97
	v_fma_f16 v38, v38, -0.5, v33
	v_fma_f16 v39, v37, s7, v38
	v_fma_f16 v11, v41, v69, -v11
	ds_read_u16 v69, v17 offset:250
	v_fma_f16 v37, v37, s4, v38
	v_fma_f16 v38, v35, s5, v39
	v_sub_f16_e32 v39, v75, v85
	v_sub_f16_e32 v41, v3, v1
	v_fma_f16 v35, v35, s10, v37
	v_add_f16_e32 v39, v39, v41
	v_add_f16_e32 v41, v85, v1
	v_fma_f16 v37, v22, s6, v38
	v_fma_f16 v22, v22, s6, v35
	v_sub_f16_e32 v35, v74, v97
	s_waitcnt lgkmcnt(1)
	v_fma_f16 v41, v41, -0.5, v40
	v_sub_f16_e32 v38, v84, v91
	v_fma_f16 v70, v35, s7, v41
	v_fma_f16 v41, v35, s4, v41
	;; [unrolled: 1-line block ×6, first 2 shown]
	v_add_f16_e32 v41, v75, v3
	v_fma_f16 v41, v41, -0.5, v40
	v_add_f16_e32 v40, v40, v75
	v_add_f16_e32 v40, v40, v85
	;; [unrolled: 1-line block ×3, first 2 shown]
	v_sub_f16_e32 v71, v85, v75
	v_add_f16_e32 v40, v40, v3
	v_sub_f16_e32 v1, v1, v3
	v_fma_f16 v3, v38, s4, v41
	v_fma_f16 v38, v38, s7, v41
	v_add_f16_e32 v1, v71, v1
	v_fma_f16 v3, v35, s10, v3
	v_fma_f16 v35, v35, s5, v38
	;; [unrolled: 1-line block ×4, first 2 shown]
	v_sub_f16_e32 v35, v82, v86
	v_sub_f16_e32 v38, v5, v23
	v_add_f16_e32 v35, v35, v38
	v_add_f16_e32 v38, v86, v23
	v_fma_f16 v38, v38, -0.5, v73
	v_sub_f16_e32 v41, v83, v6
	v_fma_f16 v71, v41, s4, v38
	v_sub_f16_e32 v72, v0, v2
	v_fma_f16 v38, v41, s7, v38
	v_fma_f16 v71, v72, s5, v71
	;; [unrolled: 1-line block ×3, first 2 shown]
	v_add_f16_e32 v33, v33, v74
	v_fma_f16 v71, v35, s6, v71
	v_fma_f16 v35, v35, s6, v38
	v_sub_f16_e32 v38, v86, v82
	v_sub_f16_e32 v74, v23, v5
	v_add_f16_e32 v38, v38, v74
	v_add_f16_e32 v74, v82, v5
	v_fma_f16 v74, v74, -0.5, v73
	v_fma_f16 v75, v72, s7, v74
	v_fma_f16 v72, v72, s4, v74
	;; [unrolled: 1-line block ×6, first 2 shown]
	v_add_f16_e32 v41, v73, v82
	v_add_f16_e32 v41, v41, v86
	v_sub_f16_e32 v73, v83, v0
	v_sub_f16_e32 v74, v6, v2
	v_add_f16_e32 v41, v41, v23
	v_add_f16_e32 v73, v73, v74
	;; [unrolled: 1-line block ×4, first 2 shown]
	v_sub_f16_e32 v5, v82, v5
	v_fma_f16 v74, v74, -0.5, v67
	v_sub_f16_e32 v23, v86, v23
	v_fma_f16 v75, v5, s7, v74
	v_fma_f16 v74, v5, s4, v74
	;; [unrolled: 1-line block ×6, first 2 shown]
	v_add_f16_e32 v74, v83, v6
	v_fma_f16 v74, v74, -0.5, v67
	v_add_f16_e32 v67, v67, v83
	v_add_f16_e32 v67, v67, v0
	v_sub_f16_e32 v0, v0, v83
	v_add_f16_e32 v67, v67, v2
	v_sub_f16_e32 v2, v2, v6
	v_add_f16_e32 v67, v67, v6
	v_add_f16_e32 v0, v0, v2
	v_fma_f16 v2, v23, s4, v74
	v_fma_f16 v6, v23, s7, v74
	;; [unrolled: 1-line block ×6, first 2 shown]
	v_mul_f16_e32 v5, 0x38b4, v75
	v_fma_f16 v5, v71, s11, v5
	v_mul_f16_e32 v6, 0xb8b4, v71
	v_mul_f16_e32 v71, 0xbb9c, v72
	;; [unrolled: 1-line block ×3, first 2 shown]
	v_fma_f16 v2, v2, s6, v71
	v_mul_f16_e32 v71, 0x34f2, v38
	v_fma_f16 v71, v0, s4, -v71
	v_mul_f16_e32 v0, 0x34f2, v0
	v_fma_f16 v0, v38, s7, -v0
	v_add_f16_e32 v80, v1, v0
	v_sub_f16_e32 v81, v1, v0
	v_sub_f16_e32 v0, v61, v64
	;; [unrolled: 1-line block ×3, first 2 shown]
	v_add_f16_e32 v0, v0, v1
	v_add_f16_e32 v1, v64, v66
	v_fma_f16 v6, v75, s11, v6
	v_add_f16_e32 v75, v3, v2
	v_sub_f16_e32 v78, v3, v2
	v_fma_f16 v1, v1, -0.5, v31
	v_sub_f16_e32 v2, v55, v62
	v_fma_f16 v23, v72, s6, v23
	v_mul_f16_e32 v72, 0x3a79, v73
	v_add_f16_e32 v74, v70, v6
	v_sub_f16_e32 v70, v70, v6
	v_fma_f16 v3, v2, s4, v1
	v_sub_f16_e32 v6, v58, v60
	v_fma_f16 v1, v2, s7, v1
	v_mul_f16_e32 v38, 0x3a79, v35
	v_fma_f16 v35, v35, s10, -v72
	v_fma_f16 v3, v6, s5, v3
	v_fma_f16 v1, v6, s10, v1
	v_add_f16_e32 v33, v33, v84
	v_add_f16_e32 v82, v39, v35
	v_sub_f16_e32 v83, v39, v35
	v_fma_f16 v3, v0, s6, v3
	v_fma_f16 v0, v0, s6, v1
	v_sub_f16_e32 v1, v64, v61
	v_sub_f16_e32 v35, v66, v79
	v_add_f16_e32 v33, v33, v91
	v_add_f16_e32 v1, v1, v35
	;; [unrolled: 1-line block ×4, first 2 shown]
	v_fma_f16 v38, v73, s5, -v38
	v_fma_f16 v35, v35, -0.5, v31
	v_add_f16_e32 v72, v33, v41
	v_sub_f16_e32 v33, v33, v41
	v_add_f16_e32 v41, v36, v5
	v_sub_f16_e32 v5, v36, v5
	;; [unrolled: 2-line block ×5, first 2 shown]
	v_fma_f16 v38, v6, s7, v35
	v_fma_f16 v6, v6, s4, v35
	;; [unrolled: 1-line block ×6, first 2 shown]
	v_sub_f16_e32 v2, v8, v9
	v_sub_f16_e32 v35, v7, v10
	v_add_f16_e32 v2, v2, v35
	v_add_f16_e32 v35, v9, v10
	v_fma_f16 v35, v35, -0.5, v98
	v_sub_f16_e32 v38, v52, v65
	v_add_f16_e32 v73, v40, v67
	v_sub_f16_e32 v67, v40, v67
	v_fma_f16 v39, v38, s4, v35
	v_sub_f16_e32 v40, v54, v57
	v_fma_f16 v35, v38, s7, v35
	v_fma_f16 v39, v40, s5, v39
	;; [unrolled: 1-line block ×5, first 2 shown]
	v_sub_f16_e32 v2, v9, v8
	v_sub_f16_e32 v35, v10, v7
	v_add_f16_e32 v2, v2, v35
	v_add_f16_e32 v35, v8, v7
	v_fma_f16 v35, v35, -0.5, v98
	v_fma_f16 v39, v40, s7, v35
	v_fma_f16 v35, v40, s4, v35
	;; [unrolled: 1-line block ×6, first 2 shown]
	v_add_f16_e32 v2, v98, v8
	v_add_f16_e32 v2, v2, v9
	;; [unrolled: 1-line block ×4, first 2 shown]
	v_sub_f16_e32 v7, v8, v7
	v_sub_f16_e32 v8, v9, v10
	;; [unrolled: 1-line block ×4, first 2 shown]
	v_add_f16_e32 v9, v9, v10
	v_add_f16_e32 v10, v54, v57
	v_fma_f16 v10, v10, -0.5, v51
	v_fma_f16 v35, v7, s7, v10
	v_fma_f16 v10, v7, s4, v10
	;; [unrolled: 1-line block ×6, first 2 shown]
	v_sub_f16_e32 v9, v54, v52
	v_sub_f16_e32 v10, v57, v65
	v_add_f16_e32 v9, v9, v10
	v_add_f16_e32 v10, v52, v65
	v_fma_f16 v10, v10, -0.5, v51
	v_fma_f16 v35, v8, s4, v10
	v_fma_f16 v8, v8, s7, v10
	;; [unrolled: 1-line block ×5, first 2 shown]
	v_add_f16_e32 v7, v31, v61
	v_add_f16_e32 v7, v7, v64
	v_add_f16_e32 v7, v7, v66
	v_add_f16_e32 v7, v7, v79
	v_add_f16_e32 v8, v7, v2
	v_sub_f16_e32 v2, v7, v2
	v_mul_f16_e32 v7, 0x38b4, v88
	v_fma_f16 v90, v9, s6, v10
	v_fma_f16 v7, v84, s11, v7
	v_add_f16_e32 v9, v3, v7
	v_sub_f16_e32 v3, v3, v7
	v_mul_f16_e32 v7, 0x3b9c, v90
	v_fma_f16 v7, v86, s6, v7
	v_add_f16_e32 v10, v6, v7
	v_sub_f16_e32 v6, v6, v7
	v_mul_f16_e32 v7, 0x34f2, v87
	v_fma_f16 v7, v91, s4, -v7
	v_add_f16_e32 v31, v1, v7
	v_sub_f16_e32 v1, v1, v7
	v_mul_f16_e32 v7, 0x3a79, v85
	v_fma_f16 v7, v89, s5, -v7
	v_add_f16_e32 v35, v0, v7
	v_sub_f16_e32 v0, v0, v7
	v_sub_f16_e32 v7, v50, v53
	;; [unrolled: 1-line block ×3, first 2 shown]
	v_add_f16_e32 v7, v7, v38
	v_add_f16_e32 v38, v53, v59
	v_fma_f16 v38, v38, -0.5, v30
	v_sub_f16_e32 v39, v47, v43
	v_fma_f16 v40, v39, s4, v38
	v_sub_f16_e32 v92, v48, v49
	v_fma_f16 v38, v39, s7, v38
	v_fma_f16 v40, v92, s5, v40
	v_fma_f16 v38, v92, s10, v38
	v_fma_f16 v40, v7, s6, v40
	v_fma_f16 v7, v7, s6, v38
	v_sub_f16_e32 v38, v53, v50
	v_sub_f16_e32 v93, v59, v63
	v_add_f16_e32 v38, v38, v93
	v_add_f16_e32 v93, v50, v63
	v_fma_f16 v93, v93, -0.5, v30
	v_fma_f16 v94, v92, s7, v93
	v_fma_f16 v92, v92, s4, v93
	;; [unrolled: 1-line block ×6, first 2 shown]
	v_sub_f16_e32 v39, v12, v13
	v_sub_f16_e32 v93, v14, v4
	v_add_f16_e32 v39, v39, v93
	v_add_f16_e32 v93, v13, v4
	v_fma_f16 v93, v93, -0.5, v11
	v_sub_f16_e32 v94, v44, v56
	v_fma_f16 v95, v94, s4, v93
	v_sub_f16_e32 v96, v46, v42
	v_fma_f16 v93, v94, s7, v93
	v_fma_f16 v95, v96, s5, v95
	;; [unrolled: 1-line block ×5, first 2 shown]
	v_sub_f16_e32 v39, v13, v12
	v_sub_f16_e32 v97, v4, v14
	v_add_f16_e32 v39, v39, v97
	v_add_f16_e32 v97, v12, v14
	v_fma_f16 v97, v97, -0.5, v11
	v_add_f16_e32 v11, v11, v12
	v_add_f16_e32 v11, v11, v13
	;; [unrolled: 1-line block ×4, first 2 shown]
	v_sub_f16_e32 v12, v12, v14
	v_sub_f16_e32 v4, v13, v4
	;; [unrolled: 1-line block ×4, first 2 shown]
	v_fma_f16 v98, v96, s7, v97
	v_fma_f16 v96, v96, s4, v97
	v_add_f16_e32 v13, v13, v14
	v_add_f16_e32 v14, v46, v42
	v_fma_f16 v97, v94, s5, v98
	v_fma_f16 v94, v94, s10, v96
	v_fma_f16 v14, v14, -0.5, v45
	v_fma_f16 v96, v39, s6, v97
	v_fma_f16 v94, v39, s6, v94
	;; [unrolled: 1-line block ×8, first 2 shown]
	v_sub_f16_e32 v13, v46, v44
	v_sub_f16_e32 v14, v42, v56
	v_add_f16_e32 v13, v13, v14
	v_add_f16_e32 v14, v44, v56
	v_fma_f16 v14, v14, -0.5, v45
	v_fma_f16 v39, v4, s4, v14
	v_fma_f16 v4, v4, s7, v14
	;; [unrolled: 1-line block ×4, first 2 shown]
	v_add_f16_e32 v4, v30, v50
	v_add_f16_e32 v4, v4, v53
	;; [unrolled: 1-line block ×4, first 2 shown]
	v_fma_f16 v14, v12, s10, v39
	v_add_f16_e32 v12, v4, v11
	v_sub_f16_e32 v4, v4, v11
	v_mul_f16_e32 v11, 0x38b4, v97
	v_mul_f16_e32 v39, 0x34f2, v94
	v_fma_f16 v99, v13, s6, v14
	v_fma_f16 v11, v95, s11, v11
	v_fma_f16 v39, v100, s4, -v39
	v_add_f16_e32 v13, v40, v11
	v_sub_f16_e32 v11, v40, v11
	v_mul_f16_e32 v14, 0x3b9c, v99
	v_add_f16_e32 v40, v38, v39
	v_sub_f16_e32 v38, v38, v39
	v_mul_f16_e32 v39, 0x3a79, v93
	v_fma_f16 v14, v96, s6, v14
	v_fma_f16 v39, v98, s5, -v39
	v_add_f16_e32 v30, v92, v14
	v_sub_f16_e32 v14, v92, v14
	v_add_f16_e32 v92, v7, v39
	v_sub_f16_e32 v7, v7, v39
	v_mov_b32_e32 v39, 0x5dc
	v_cndmask_b32_e32 v39, 0, v39, vcc
	v_add3_u32 v32, 0, v39, v32
	s_waitcnt lgkmcnt(0)
	s_barrier
	ds_write_b16 v32, v72
	ds_write_b16 v32, v41 offset:150
	ds_write_b16 v32, v36 offset:300
	;; [unrolled: 1-line block ×9, first 2 shown]
	v_lshlrev_b32_sdwa v5, v29, v34 dst_sel:DWORD dst_unused:UNUSED_PAD src0_sel:DWORD src1_sel:BYTE_0
	v_mul_u32_u24_e32 v15, 0x5dc, v20
	v_add3_u32 v20, 0, v15, v5
	ds_write_b16 v20, v8
	ds_write_b16 v20, v9 offset:150
	ds_write_b16 v20, v10 offset:300
	ds_write_b16 v20, v31 offset:450
	ds_write_b16 v20, v35 offset:600
	ds_write_b16 v20, v2 offset:750
	ds_write_b16 v20, v3 offset:900
	ds_write_b16 v20, v6 offset:1050
	ds_write_b16 v20, v1 offset:1200
	ds_write_b16 v20, v0 offset:1350
	v_mul_u32_u24_e32 v0, 0x5dc, v76
	v_lshlrev_b32_e32 v1, 1, v77
	v_add3_u32 v71, 0, v0, v1
	ds_write_b16 v71, v12
	ds_write_b16 v71, v13 offset:150
	ds_write_b16 v71, v30 offset:300
	;; [unrolled: 1-line block ×9, first 2 shown]
	s_waitcnt lgkmcnt(0)
	s_barrier
	ds_read_u16 v11, v17 offset:3500
	ds_read_u16 v22, v17 offset:3750
	ds_read_u16 v0, v17
	ds_read_u16 v4, v17 offset:250
	ds_read_u16 v10, v17 offset:500
	;; [unrolled: 1-line block ×27, first 2 shown]
	s_waitcnt lgkmcnt(0)
	s_barrier
	ds_write_b16 v32, v73
	ds_write_b16 v32, v74 offset:150
	ds_write_b16 v32, v75 offset:300
	;; [unrolled: 1-line block ×9, first 2 shown]
	v_sub_f16_e32 v32, v61, v79
	v_sub_f16_e32 v61, v64, v66
	;; [unrolled: 1-line block ×4, first 2 shown]
	v_add_f16_e32 v64, v64, v66
	v_add_f16_e32 v66, v58, v60
	v_fma_f16 v66, v66, -0.5, v69
	v_fma_f16 v67, v32, s7, v66
	v_fma_f16 v66, v32, s4, v66
	;; [unrolled: 1-line block ×6, first 2 shown]
	v_add_f16_e32 v66, v55, v62
	v_fma_f16 v66, v66, -0.5, v69
	v_add_f16_e32 v69, v69, v55
	v_add_f16_e32 v69, v69, v58
	v_sub_f16_e32 v55, v58, v55
	v_add_f16_e32 v58, v69, v60
	v_sub_f16_e32 v60, v60, v62
	v_add_f16_e32 v55, v55, v60
	v_fma_f16 v60, v61, s4, v66
	v_fma_f16 v61, v61, s7, v66
	v_add_f16_e32 v51, v51, v52
	v_fma_f16 v60, v32, s10, v60
	v_fma_f16 v32, v32, s5, v61
	v_add_f16_e32 v51, v51, v54
	v_sub_f16_e32 v50, v50, v63
	v_sub_f16_e32 v53, v53, v59
	;; [unrolled: 1-line block ×4, first 2 shown]
	v_fma_f16 v60, v55, s6, v60
	v_fma_f16 v32, v55, s6, v32
	v_add_f16_e32 v51, v51, v57
	v_mul_f16_e32 v54, 0xbb9c, v86
	v_mul_f16_e32 v55, 0x34f2, v91
	;; [unrolled: 1-line block ×3, first 2 shown]
	v_add_f16_e32 v59, v59, v63
	v_add_f16_e32 v63, v48, v49
	v_fma_f16 v54, v90, s6, v54
	v_fma_f16 v55, v87, s7, -v55
	v_fma_f16 v57, v85, s10, -v57
	v_fma_f16 v63, v63, -0.5, v68
	v_add_f16_e32 v58, v58, v62
	v_add_f16_e32 v51, v51, v65
	;; [unrolled: 1-line block ×3, first 2 shown]
	v_sub_f16_e32 v54, v60, v54
	v_add_f16_e32 v60, v32, v55
	v_sub_f16_e32 v32, v32, v55
	v_add_f16_e32 v55, v64, v57
	v_sub_f16_e32 v57, v64, v57
	v_fma_f16 v64, v50, s7, v63
	v_fma_f16 v63, v50, s4, v63
	v_add_f16_e32 v65, v68, v47
	v_fma_f16 v64, v53, s10, v64
	v_fma_f16 v63, v53, s5, v63
	v_add_f16_e32 v65, v65, v48
	;; [unrolled: 3-line block ×3, first 2 shown]
	v_sub_f16_e32 v47, v48, v47
	v_add_f16_e32 v48, v65, v49
	v_fma_f16 v63, v63, -0.5, v68
	v_add_f16_e32 v48, v48, v43
	v_sub_f16_e32 v43, v49, v43
	v_add_f16_e32 v43, v47, v43
	v_fma_f16 v47, v53, s4, v63
	v_fma_f16 v49, v53, s7, v63
	v_add_f16_e32 v44, v45, v44
	v_fma_f16 v47, v50, s10, v47
	v_fma_f16 v49, v50, s5, v49
	v_add_f16_e32 v44, v44, v46
	v_mul_f16_e32 v52, 0xb8b4, v84
	v_fma_f16 v47, v43, s6, v47
	v_fma_f16 v43, v43, s6, v49
	v_add_f16_e32 v42, v44, v42
	v_mul_f16_e32 v44, 0xb8b4, v95
	v_mul_f16_e32 v45, 0xbb9c, v96
	;; [unrolled: 1-line block ×4, first 2 shown]
	v_fma_f16 v52, v88, s11, v52
	v_add_f16_e32 v61, v58, v51
	v_add_f16_e32 v42, v42, v56
	v_fma_f16 v44, v97, s11, v44
	v_fma_f16 v45, v99, s6, v45
	v_fma_f16 v46, v94, s7, -v46
	v_fma_f16 v49, v93, s10, -v49
	v_sub_f16_e32 v51, v58, v51
	v_add_f16_e32 v58, v67, v52
	v_sub_f16_e32 v52, v67, v52
	v_add_f16_e32 v50, v48, v42
	;; [unrolled: 2-line block ×6, first 2 shown]
	v_sub_f16_e32 v49, v59, v49
	ds_write_b16 v20, v61
	ds_write_b16 v20, v58 offset:150
	ds_write_b16 v20, v62 offset:300
	;; [unrolled: 1-line block ×9, first 2 shown]
	ds_write_b16 v71, v50
	ds_write_b16 v71, v48 offset:150
	ds_write_b16 v71, v53 offset:300
	;; [unrolled: 1-line block ×9, first 2 shown]
	s_waitcnt lgkmcnt(0)
	s_barrier
	s_and_saveexec_b64 s[12:13], s[0:1]
	s_cbranch_execz .LBB0_13
; %bb.12:
	v_lshlrev_b32_e32 v20, 2, v27
	v_lshlrev_b64 v[42:43], 2, v[20:21]
	v_mov_b32_e32 v32, s9
	v_add_co_u32_e32 v42, vcc, s8, v42
	v_addc_co_u32_e32 v43, vcc, v32, v43, vcc
	global_load_dwordx4 v[42:45], v[42:43], off offset:2988
	v_lshlrev_b32_e32 v20, 2, v28
	v_lshlrev_b64 v[46:47], 2, v[20:21]
	ds_read_u16 v51, v17 offset:5750
	ds_read_u16 v55, v17 offset:5500
	ds_read_u16 v56, v17 offset:5250
	ds_read_u16 v57, v17 offset:5000
	ds_read_u16 v58, v17 offset:4750
	ds_read_u16 v59, v17 offset:4500
	ds_read_u16 v52, v17 offset:4250
	ds_read_u16 v60, v17 offset:4000
	ds_read_u16 v61, v17 offset:3750
	ds_read_u16 v62, v17 offset:3500
	ds_read_u16 v63, v17 offset:3250
	ds_read_u16 v64, v17 offset:3000
	ds_read_u16 v53, v17 offset:2750
	ds_read_u16 v65, v17 offset:2500
	ds_read_u16 v54, v17 offset:7250
	ds_read_u16 v66, v17 offset:7000
	v_add_co_u32_e32 v46, vcc, s8, v46
	v_addc_co_u32_e32 v47, vcc, v32, v47, vcc
	global_load_dwordx4 v[47:50], v[46:47], off offset:2988
	ds_read_u16 v67, v17 offset:1750
	ds_read_u16 v68, v17 offset:1500
	;; [unrolled: 1-line block ×5, first 2 shown]
	s_movk_i32 s0, 0x1000
	s_movk_i32 s1, 0x2000
	s_waitcnt vmcnt(1)
	v_lshrrev_b32_e32 v46, 16, v42
	v_lshrrev_b32_e32 v70, 16, v43
	;; [unrolled: 1-line block ×4, first 2 shown]
	s_waitcnt lgkmcnt(14)
	v_mul_f16_e32 v73, v43, v52
	s_waitcnt lgkmcnt(8)
	v_mul_f16_e32 v74, v42, v53
	v_mul_f16_e32 v75, v44, v51
	s_waitcnt lgkmcnt(6)
	v_mul_f16_e32 v76, v45, v54
	v_fma_f16 v73, v40, v70, v73
	v_fma_f16 v74, v38, v46, v74
	;; [unrolled: 1-line block ×4, first 2 shown]
	v_mul_f16_e32 v46, v46, v53
	v_mul_f16_e32 v53, v72, v54
	;; [unrolled: 1-line block ×4, first 2 shown]
	v_sub_f16_e32 v54, v73, v74
	v_sub_f16_e32 v70, v75, v76
	v_fma_f16 v71, v38, v42, -v46
	v_fma_f16 v53, v41, v45, -v53
	v_add_f16_e32 v38, v74, v76
	v_fma_f16 v52, v40, v43, -v52
	v_fma_f16 v51, v39, v44, -v51
	v_add_f16_e32 v41, v73, v75
	v_sub_f16_e32 v39, v74, v73
	v_sub_f16_e32 v40, v76, v75
	s_waitcnt lgkmcnt(2)
	v_add_f16_e32 v42, v74, v20
	v_add_f16_e32 v43, v54, v70
	v_sub_f16_e32 v44, v71, v53
	v_fma_f16 v38, v38, -0.5, v20
	v_sub_f16_e32 v45, v52, v51
	v_fma_f16 v20, v41, -0.5, v20
	v_add_f16_e32 v54, v71, v53
	v_sub_f16_e32 v46, v73, v75
	v_add_f16_e32 v40, v39, v40
	v_add_f16_e32 v39, v73, v42
	v_sub_f16_e32 v41, v52, v71
	v_sub_f16_e32 v42, v51, v53
	v_fma_f16 v70, v45, s7, v38
	v_fma_f16 v38, v45, s4, v38
	;; [unrolled: 1-line block ×4, first 2 shown]
	v_fma_f16 v54, v54, -0.5, v37
	v_sub_f16_e32 v72, v74, v76
	v_add_f16_e32 v74, v41, v42
	v_fma_f16 v41, v44, s5, v70
	v_fma_f16 v44, v44, s10, v38
	;; [unrolled: 1-line block ×5, first 2 shown]
	v_add_f16_e32 v39, v75, v39
	v_fma_f16 v38, v43, s6, v41
	v_fma_f16 v41, v43, s6, v44
	;; [unrolled: 1-line block ×4, first 2 shown]
	v_add_f16_e32 v42, v76, v39
	v_fma_f16 v39, v40, s6, v70
	v_fma_f16 v40, v74, s6, v20
	;; [unrolled: 1-line block ×5, first 2 shown]
	v_sub_f16_e32 v20, v71, v52
	v_sub_f16_e32 v44, v53, v51
	v_add_f16_e32 v20, v20, v44
	v_add_f16_e32 v44, v52, v51
	v_fma_f16 v54, v44, -0.5, v37
	v_fma_f16 v44, v72, s7, v54
	v_fma_f16 v54, v72, s4, v54
	;; [unrolled: 1-line block ×6, first 2 shown]
	v_add_f16_e32 v20, v37, v71
	v_add_f16_e32 v20, v52, v20
	;; [unrolled: 1-line block ×4, first 2 shown]
	s_waitcnt vmcnt(0)
	v_lshrrev_b32_e32 v71, 16, v48
	v_mul_f16_e32 v20, v48, v60
	v_lshrrev_b32_e32 v70, 16, v47
	v_fma_f16 v74, v33, v71, v20
	v_lshlrev_b32_e32 v20, 2, v26
	v_lshrrev_b32_e32 v72, 16, v49
	v_lshrrev_b32_e32 v73, 16, v50
	v_lshlrev_b64 v[51:52], 2, v[20:21]
	v_mul_f16_e32 v20, v47, v65
	v_mul_f16_e32 v78, v50, v66
	;; [unrolled: 1-line block ×4, first 2 shown]
	v_fma_f16 v20, v34, v70, v20
	v_mul_f16_e32 v76, v49, v55
	v_fma_f16 v78, v36, v73, v78
	v_fma_f16 v34, v34, v47, -v65
	v_mul_f16_e32 v47, v73, v66
	v_fma_f16 v33, v33, v48, -v60
	v_mul_f16_e32 v48, v72, v55
	v_fma_f16 v76, v35, v72, v76
	v_fma_f16 v36, v36, v50, -v47
	v_add_f16_e32 v50, v20, v78
	v_fma_f16 v35, v35, v49, -v48
	s_waitcnt lgkmcnt(1)
	v_fma_f16 v50, v50, -0.5, v69
	v_sub_f16_e32 v48, v33, v35
	v_sub_f16_e32 v26, v74, v20
	;; [unrolled: 1-line block ×4, first 2 shown]
	v_fma_f16 v49, v48, s7, v50
	v_fma_f16 v50, v48, s4, v50
	v_add_f16_e32 v26, v26, v79
	ds_read_u16 v79, v17 offset:6500
	v_fma_f16 v49, v47, s5, v49
	v_fma_f16 v50, v47, s10, v50
	;; [unrolled: 1-line block ×4, first 2 shown]
	v_sub_f16_e32 v26, v20, v74
	v_sub_f16_e32 v55, v78, v76
	v_add_f16_e32 v26, v26, v55
	v_add_f16_e32 v55, v74, v76
	v_fma_f16 v55, v55, -0.5, v69
	v_fma_f16 v60, v47, s4, v55
	v_fma_f16 v47, v47, s7, v55
	;; [unrolled: 1-line block ×6, first 2 shown]
	v_add_f16_e32 v26, v20, v69
	v_add_f16_e32 v26, v74, v26
	v_add_co_u32_e32 v51, vcc, s8, v51
	v_add_f16_e32 v26, v76, v26
	v_addc_co_u32_e32 v52, vcc, v32, v52, vcc
	v_add_f16_e32 v48, v78, v26
	v_sub_f16_e32 v26, v33, v34
	v_sub_f16_e32 v55, v35, v36
	global_load_dwordx4 v[51:54], v[51:52], off offset:2988
	v_add_f16_e32 v26, v26, v55
	v_add_f16_e32 v55, v34, v36
	v_fma_f16 v55, v55, -0.5, v31
	v_sub_f16_e32 v66, v74, v76
	v_fma_f16 v69, v66, s4, v55
	v_sub_f16_e32 v20, v20, v78
	v_fma_f16 v55, v66, s7, v55
	v_fma_f16 v69, v20, s10, v69
	;; [unrolled: 1-line block ×5, first 2 shown]
	v_sub_f16_e32 v26, v34, v33
	v_sub_f16_e32 v70, v36, v35
	v_add_f16_e32 v26, v26, v70
	v_add_f16_e32 v70, v33, v35
	v_fma_f16 v70, v70, -0.5, v31
	v_fma_f16 v71, v20, s7, v70
	v_fma_f16 v20, v20, s4, v70
	;; [unrolled: 1-line block ×5, first 2 shown]
	v_add_f16_e32 v20, v31, v34
	v_add_f16_e32 v20, v33, v20
	;; [unrolled: 1-line block ×4, first 2 shown]
	v_lshlrev_b32_e32 v20, 2, v25
	v_fma_f16 v71, v26, s6, v71
	v_lshlrev_b64 v[25:26], 2, v[20:21]
	ds_read_u16 v75, v17 offset:2250
	v_add_co_u32_e32 v25, vcc, s8, v25
	v_addc_co_u32_e32 v26, vcc, v32, v26, vcc
	global_load_dwordx4 v[33:36], v[25:26], off offset:2988
	ds_read_u16 v65, v17 offset:750
	ds_read_u16 v73, v17 offset:2000
	s_waitcnt vmcnt(1)
	v_lshrrev_b32_e32 v25, 16, v52
	v_mul_f16_e32 v72, v52, v61
	v_lshrrev_b32_e32 v20, 16, v51
	v_lshrrev_b32_e32 v26, 16, v53
	;; [unrolled: 1-line block ×3, first 2 shown]
	v_fma_f16 v72, v22, v25, v72
	s_waitcnt lgkmcnt(2)
	v_mul_f16_e32 v74, v51, v75
	v_mul_f16_e32 v78, v53, v56
	;; [unrolled: 1-line block ×4, first 2 shown]
	v_fma_f16 v74, v23, v20, v74
	v_fma_f16 v78, v29, v26, v78
	;; [unrolled: 1-line block ×3, first 2 shown]
	v_mul_f16_e32 v20, v20, v75
	v_fma_f16 v22, v22, v52, -v25
	v_mul_f16_e32 v25, v26, v56
	v_fma_f16 v20, v23, v51, -v20
	v_mul_f16_e32 v23, v70, v77
	v_add_f16_e32 v51, v74, v80
	v_fma_f16 v25, v29, v53, -v25
	v_sub_f16_e32 v52, v74, v72
	v_sub_f16_e32 v53, v80, v78
	v_fma_f16 v23, v30, v54, -v23
	ds_read_u16 v54, v17 offset:500
	s_waitcnt lgkmcnt(2)
	v_fma_f16 v51, v51, -0.5, v65
	v_sub_f16_e32 v26, v22, v25
	v_add_f16_e32 v52, v52, v53
	v_add_f16_e32 v53, v72, v78
	v_sub_f16_e32 v30, v20, v23
	v_fma_f16 v29, v26, s7, v51
	v_fma_f16 v51, v26, s4, v51
	v_fma_f16 v53, v53, -0.5, v65
	v_fma_f16 v29, v30, s5, v29
	v_fma_f16 v51, v30, s10, v51
	v_fma_f16 v56, v30, s4, v53
	v_fma_f16 v30, v30, s7, v53
	v_fma_f16 v56, v26, s5, v56
	v_fma_f16 v26, v26, s10, v30
	v_fma_f16 v56, v52, s6, v56
	v_fma_f16 v26, v52, s6, v26
	v_sub_f16_e32 v52, v22, v20
	v_sub_f16_e32 v53, v25, v23
	v_add_f16_e32 v52, v52, v53
	v_add_f16_e32 v53, v20, v23
	v_fma_f16 v53, v53, -0.5, v15
	v_sub_f16_e32 v61, v72, v78
	v_add_f16_e32 v30, v74, v65
	v_fma_f16 v65, v61, s4, v53
	v_sub_f16_e32 v70, v74, v80
	v_fma_f16 v53, v61, s7, v53
	v_fma_f16 v65, v70, s10, v65
	;; [unrolled: 1-line block ×3, first 2 shown]
	v_sub_f16_e32 v76, v72, v74
	v_add_f16_e32 v30, v72, v30
	v_fma_f16 v65, v52, s6, v65
	v_fma_f16 v52, v52, s6, v53
	v_sub_f16_e32 v53, v20, v22
	v_sub_f16_e32 v72, v23, v25
	v_add_f16_e32 v53, v53, v72
	v_add_f16_e32 v72, v22, v25
	v_fma_f16 v72, v72, -0.5, v15
	v_sub_f16_e32 v81, v78, v80
	v_fma_f16 v74, v70, s7, v72
	v_fma_f16 v70, v70, s4, v72
	v_add_f16_e32 v15, v15, v20
	v_add_f16_e32 v76, v76, v81
	v_fma_f16 v74, v61, s10, v74
	v_fma_f16 v61, v61, s5, v70
	v_add_f16_e32 v15, v22, v15
	s_waitcnt vmcnt(0)
	v_lshrrev_b32_e32 v70, 16, v34
	v_mul_f16_e32 v20, v34, v62
	v_fma_f16 v29, v76, s6, v29
	v_fma_f16 v51, v76, s6, v51
	v_add_f16_e32 v15, v15, v25
	v_fma_f16 v76, v11, v70, v20
	v_lshlrev_b32_e32 v20, 2, v24
	v_add_f16_e32 v15, v15, v23
	v_lshlrev_b64 v[22:23], 2, v[20:21]
	v_fma_f16 v74, v53, s6, v74
	v_fma_f16 v53, v53, s6, v61
	v_lshrrev_b32_e32 v61, 16, v33
	s_waitcnt lgkmcnt(1)
	v_mul_f16_e32 v20, v33, v73
	v_add_f16_e32 v30, v78, v30
	v_lshrrev_b32_e32 v72, 16, v35
	v_lshrrev_b32_e32 v75, 16, v36
	v_add_co_u32_e32 v22, vcc, s8, v22
	v_fma_f16 v20, v12, v61, v20
	v_mul_f16_e32 v78, v35, v57
	v_mul_f16_e32 v81, v36, v79
	;; [unrolled: 1-line block ×4, first 2 shown]
	v_addc_co_u32_e32 v23, vcc, v32, v23, vcc
	v_fma_f16 v78, v13, v72, v78
	v_fma_f16 v81, v14, v75, v81
	v_fma_f16 v12, v12, v33, -v61
	ds_read_u16 v61, v17 offset:250
	v_mul_f16_e32 v33, v75, v79
	v_fma_f16 v11, v11, v34, -v62
	v_mul_f16_e32 v34, v72, v57
	global_load_dwordx4 v[22:25], v[22:23], off offset:2988
	v_fma_f16 v14, v14, v36, -v33
	v_add_f16_e32 v36, v20, v81
	v_fma_f16 v13, v13, v35, -v34
	v_sub_f16_e32 v57, v20, v76
	v_sub_f16_e32 v62, v81, v78
	s_waitcnt lgkmcnt(1)
	v_fma_f16 v36, v36, -0.5, v54
	v_sub_f16_e32 v34, v11, v13
	v_add_f16_e32 v57, v57, v62
	v_add_f16_e32 v62, v76, v78
	v_sub_f16_e32 v33, v12, v14
	v_fma_f16 v35, v34, s7, v36
	v_fma_f16 v36, v34, s4, v36
	v_fma_f16 v62, v62, -0.5, v54
	v_fma_f16 v35, v33, s5, v35
	v_fma_f16 v36, v33, s10, v36
	v_fma_f16 v70, v33, s4, v62
	v_fma_f16 v33, v33, s7, v62
	v_fma_f16 v70, v34, s5, v70
	v_fma_f16 v33, v34, s10, v33
	v_fma_f16 v70, v57, s6, v70
	v_fma_f16 v33, v57, s6, v33
	v_add_f16_e32 v34, v20, v54
	v_sub_f16_e32 v54, v11, v12
	v_sub_f16_e32 v57, v13, v14
	v_add_f16_e32 v54, v54, v57
	v_add_f16_e32 v57, v12, v14
	v_fma_f16 v57, v57, -0.5, v10
	v_sub_f16_e32 v62, v76, v78
	v_sub_f16_e32 v77, v76, v20
	v_fma_f16 v72, v62, s4, v57
	v_sub_f16_e32 v20, v20, v81
	v_fma_f16 v57, v62, s7, v57
	v_fma_f16 v72, v20, s10, v72
	;; [unrolled: 1-line block ×5, first 2 shown]
	v_sub_f16_e32 v57, v12, v11
	v_sub_f16_e32 v73, v14, v13
	v_add_f16_e32 v57, v57, v73
	v_add_f16_e32 v73, v11, v13
	v_fma_f16 v73, v73, -0.5, v10
	v_fma_f16 v75, v20, s7, v73
	v_fma_f16 v20, v20, s4, v73
	;; [unrolled: 1-line block ×4, first 2 shown]
	v_add_f16_e32 v10, v10, v12
	v_fma_f16 v75, v57, s6, v75
	v_fma_f16 v57, v57, s6, v20
	v_add_f16_e32 v10, v11, v10
	v_lshlrev_b32_e32 v20, 2, v16
	v_add_f16_e32 v62, v10, v13
	v_lshlrev_b64 v[10:11], 2, v[20:21]
	v_add_f16_e32 v30, v80, v30
	v_add_co_u32_e32 v10, vcc, s8, v10
	v_addc_co_u32_e32 v11, vcc, v32, v11, vcc
	global_load_dwordx4 v[10:13], v[10:11], off offset:2988
	ds_read_u16 v80, v17 offset:6250
	v_sub_f16_e32 v82, v78, v81
	v_add_f16_e32 v77, v77, v82
	v_fma_f16 v35, v77, s6, v35
	v_fma_f16 v36, v77, s6, v36
	v_add_f16_e32 v34, v76, v34
	v_add_f16_e32 v34, v78, v34
	;; [unrolled: 1-line block ×3, first 2 shown]
	ds_read_u16 v81, v17 offset:6000
	v_add_f16_e32 v14, v62, v14
	ds_read_u16 v17, v17
	s_waitcnt vmcnt(1)
	v_lshrrev_b32_e32 v20, 16, v22
	v_mul_f16_e32 v77, v22, v67
	v_lshrrev_b32_e32 v73, 16, v25
	v_fma_f16 v77, v8, v20, v77
	v_mul_f16_e32 v20, v20, v67
	v_lshrrev_b32_e32 v32, 16, v23
	s_waitcnt lgkmcnt(2)
	v_mul_f16_e32 v82, v25, v80
	v_fma_f16 v8, v8, v22, -v20
	v_mul_f16_e32 v20, v73, v80
	v_lshrrev_b32_e32 v62, 16, v24
	v_mul_f16_e32 v76, v23, v63
	v_mul_f16_e32 v79, v24, v58
	v_fma_f16 v82, v9, v73, v82
	v_fma_f16 v9, v9, v25, -v20
	v_mul_f16_e32 v25, v32, v63
	v_fma_f16 v76, v6, v32, v76
	v_fma_f16 v79, v7, v62, v79
	v_fma_f16 v6, v6, v23, -v25
	v_mul_f16_e32 v23, v62, v58
	v_add_f16_e32 v22, v77, v82
	v_fma_f16 v7, v7, v24, -v23
	v_sub_f16_e32 v25, v77, v76
	v_sub_f16_e32 v32, v82, v79
	v_fma_f16 v22, v22, -0.5, v61
	v_sub_f16_e32 v23, v6, v7
	v_add_f16_e32 v25, v25, v32
	v_add_f16_e32 v32, v76, v79
	v_sub_f16_e32 v20, v8, v9
	v_fma_f16 v24, v23, s7, v22
	v_fma_f16 v22, v23, s4, v22
	v_fma_f16 v32, v32, -0.5, v61
	v_fma_f16 v24, v20, s5, v24
	v_fma_f16 v22, v20, s10, v22
	;; [unrolled: 1-line block ×8, first 2 shown]
	v_sub_f16_e32 v25, v6, v8
	v_sub_f16_e32 v32, v7, v9
	v_add_f16_e32 v25, v25, v32
	v_add_f16_e32 v32, v8, v9
	;; [unrolled: 1-line block ×3, first 2 shown]
	v_fma_f16 v32, v32, -0.5, v4
	v_sub_f16_e32 v61, v76, v79
	v_fma_f16 v62, v61, s4, v32
	v_sub_f16_e32 v63, v77, v82
	v_fma_f16 v32, v61, s7, v32
	v_fma_f16 v62, v63, s10, v62
	;; [unrolled: 1-line block ×5, first 2 shown]
	v_sub_f16_e32 v32, v8, v6
	v_sub_f16_e32 v67, v9, v7
	v_add_f16_e32 v32, v32, v67
	v_add_f16_e32 v67, v6, v7
	v_fma_f16 v67, v67, -0.5, v4
	v_fma_f16 v73, v63, s7, v67
	v_fma_f16 v63, v63, s4, v67
	v_add_f16_e32 v4, v4, v8
	v_fma_f16 v73, v61, s10, v73
	v_fma_f16 v61, v61, s5, v63
	v_add_f16_e32 v4, v6, v4
	;; [unrolled: 3-line block ×3, first 2 shown]
	s_waitcnt vmcnt(0)
	v_lshrrev_b32_e32 v7, 16, v11
	v_mul_f16_e32 v61, v11, v64
	v_sub_f16_e32 v78, v76, v77
	v_add_f16_e32 v23, v76, v23
	v_add_f16_e32 v6, v4, v9
	v_lshrrev_b32_e32 v4, 16, v10
	v_lshrrev_b32_e32 v8, 16, v12
	;; [unrolled: 1-line block ×3, first 2 shown]
	v_fma_f16 v61, v1, v7, v61
	v_mul_f16_e32 v63, v10, v68
	v_mul_f16_e32 v76, v12, v59
	s_waitcnt lgkmcnt(1)
	v_mul_f16_e32 v77, v13, v81
	v_mul_f16_e32 v7, v7, v64
	v_fma_f16 v63, v2, v4, v63
	v_fma_f16 v76, v3, v8, v76
	v_fma_f16 v77, v5, v9, v77
	v_mul_f16_e32 v4, v4, v68
	v_fma_f16 v1, v1, v11, -v7
	v_mul_f16_e32 v7, v8, v59
	v_fma_f16 v2, v2, v10, -v4
	v_mul_f16_e32 v4, v9, v81
	v_add_f16_e32 v9, v63, v77
	v_fma_f16 v3, v3, v12, -v7
	v_sub_f16_e32 v10, v63, v61
	v_sub_f16_e32 v11, v77, v76
	v_fma_f16 v4, v5, v13, -v4
	s_waitcnt lgkmcnt(0)
	v_fma_f16 v9, v9, -0.5, v17
	v_sub_f16_e32 v7, v1, v3
	v_add_f16_e32 v10, v10, v11
	v_add_f16_e32 v11, v61, v76
	v_sub_f16_e32 v5, v2, v4
	v_fma_f16 v8, v7, s7, v9
	v_fma_f16 v9, v7, s4, v9
	v_fma_f16 v11, v11, -0.5, v17
	v_fma_f16 v8, v5, s5, v8
	v_fma_f16 v9, v5, s10, v9
	;; [unrolled: 1-line block ×8, first 2 shown]
	v_sub_f16_e32 v10, v1, v2
	v_sub_f16_e32 v11, v3, v4
	v_add_f16_e32 v10, v10, v11
	v_add_f16_e32 v11, v2, v4
	v_fma_f16 v11, v11, -0.5, v0
	v_sub_f16_e32 v13, v61, v76
	v_add_f16_e32 v7, v63, v17
	v_fma_f16 v17, v13, s4, v11
	v_sub_f16_e32 v59, v63, v77
	v_fma_f16 v11, v13, s7, v11
	v_fma_f16 v17, v59, s10, v17
	;; [unrolled: 1-line block ×3, first 2 shown]
	v_sub_f16_e32 v67, v61, v63
	v_add_f16_e32 v7, v61, v7
	v_fma_f16 v61, v10, s6, v17
	v_fma_f16 v10, v10, s6, v11
	v_sub_f16_e32 v11, v2, v1
	v_sub_f16_e32 v17, v4, v3
	v_add_f16_e32 v11, v11, v17
	v_add_f16_e32 v17, v1, v3
	v_fma_f16 v17, v17, -0.5, v0
	v_add_f16_e32 v0, v0, v2
	v_add_f16_e32 v0, v1, v0
	v_fma_f16 v63, v59, s7, v17
	v_fma_f16 v17, v59, s4, v17
	v_add_f16_e32 v0, v0, v3
	v_fma_f16 v63, v13, s10, v63
	v_fma_f16 v13, v13, s5, v17
	v_add_f16_e32 v2, v0, v4
	v_mov_b32_e32 v17, v21
	v_mov_b32_e32 v0, s3
	v_add_co_u32_e32 v3, vcc, s2, v18
	v_addc_co_u32_e32 v4, vcc, v0, v19, vcc
	v_lshlrev_b64 v[0:1], 2, v[16:17]
	v_sub_f16_e32 v83, v79, v82
	v_add_f16_e32 v7, v76, v7
	v_add_f16_e32 v78, v78, v83
	;; [unrolled: 1-line block ×3, first 2 shown]
	v_add_co_u32_e32 v0, vcc, v3, v0
	v_fma_f16 v24, v78, s6, v24
	v_fma_f16 v22, v78, s6, v22
	v_add_f16_e32 v23, v79, v23
	v_sub_f16_e32 v78, v76, v77
	v_fma_f16 v63, v11, s6, v63
	v_fma_f16 v11, v11, s6, v13
	v_addc_co_u32_e32 v1, vcc, v4, v1, vcc
	v_pack_b32_f16 v2, v2, v7
	v_add_f16_e32 v23, v82, v23
	v_add_f16_e32 v67, v67, v78
	global_store_dword v[0:1], v2, off
	v_pack_b32_f16 v2, v11, v5
	v_fma_f16 v9, v67, s6, v9
	global_store_dword v[0:1], v2, off offset:3000
	v_add_co_u32_e32 v2, vcc, s0, v0
	v_pack_b32_f16 v6, v6, v23
	v_pack_b32_f16 v4, v10, v9
	v_addc_co_u32_e32 v3, vcc, 0, v1, vcc
	global_store_dword v[0:1], v6, off offset:500
	v_pack_b32_f16 v6, v32, v20
	v_fma_f16 v8, v67, s6, v8
	global_store_dword v[2:3], v4, off offset:1904
	v_add_co_u32_e32 v4, vcc, s1, v0
	global_store_dword v[0:1], v6, off offset:3500
	v_pack_b32_f16 v6, v25, v22
	v_pack_b32_f16 v7, v61, v8
	v_addc_co_u32_e32 v5, vcc, 0, v1, vcc
	global_store_dword v[2:3], v6, off offset:2404
	v_pack_b32_f16 v6, v62, v24
	s_movk_i32 s2, 0x3000
	global_store_dword v[4:5], v7, off offset:808
	v_pack_b32_f16 v7, v63, v12
	global_store_dword v[4:5], v6, off offset:1308
	v_add_co_u32_e32 v6, vcc, s2, v0
	global_store_dword v[4:5], v7, off offset:3808
	v_pack_b32_f16 v8, v73, v58
	v_addc_co_u32_e32 v7, vcc, 0, v1, vcc
	global_store_dword v[6:7], v8, off offset:212
	v_pack_b32_f16 v8, v14, v34
	global_store_dword v[0:1], v8, off offset:1000
	v_pack_b32_f16 v8, v57, v33
	;; [unrolled: 2-line block ×8, first 2 shown]
	s_mov_b32 s3, 0x57619f1
	global_store_dword v[2:3], v8, off offset:3404
	v_mul_hi_u32 v3, v28, s3
	v_pack_b32_f16 v2, v65, v29
	global_store_dword v[4:5], v2, off offset:2308
	v_pack_b32_f16 v2, v74, v56
	global_store_dword v[6:7], v2, off offset:1212
	v_lshrrev_b32_e32 v2, 4, v3
	v_mul_u32_u24_e32 v20, 0xbb8, v2
	v_lshlrev_b64 v[2:3], 2, v[20:21]
	s_movk_i32 s4, 0x7d0
	v_add_co_u32_e32 v2, vcc, v0, v2
	v_addc_co_u32_e32 v3, vcc, v1, v3, vcc
	v_add_co_u32_e32 v4, vcc, s4, v2
	v_pack_b32_f16 v6, v31, v48
	v_addc_co_u32_e32 v5, vcc, 0, v3, vcc
	global_store_dword v[2:3], v6, off offset:2000
	v_pack_b32_f16 v6, v66, v47
	global_store_dword v[4:5], v6, off offset:3000
	v_add_co_u32_e32 v4, vcc, s0, v2
	v_pack_b32_f16 v6, v55, v50
	v_addc_co_u32_e32 v5, vcc, 0, v3, vcc
	global_store_dword v[4:5], v6, off offset:3904
	v_add_co_u32_e32 v4, vcc, s1, v2
	v_pack_b32_f16 v6, v69, v49
	v_addc_co_u32_e32 v5, vcc, 0, v3, vcc
	global_store_dword v[4:5], v6, off offset:2808
	v_mul_hi_u32 v5, v27, s3
	v_add_co_u32_e32 v2, vcc, s2, v2
	v_pack_b32_f16 v4, v71, v60
	v_addc_co_u32_e32 v3, vcc, 0, v3, vcc
	global_store_dword v[2:3], v4, off offset:1712
	v_lshrrev_b32_e32 v2, 4, v5
	v_mul_u32_u24_e32 v20, 0xbb8, v2
	v_lshlrev_b64 v[2:3], 2, v[20:21]
	v_pack_b32_f16 v4, v37, v42
	v_add_co_u32_e32 v0, vcc, v0, v2
	v_addc_co_u32_e32 v1, vcc, v1, v3, vcc
	v_add_co_u32_e32 v2, vcc, 0x9c4, v0
	v_addc_co_u32_e32 v3, vcc, 0, v1, vcc
	global_store_dword v[0:1], v4, off offset:2500
	v_pack_b32_f16 v4, v46, v43
	global_store_dword v[2:3], v4, off offset:3000
	v_add_co_u32_e32 v2, vcc, 0x2000, v0
	v_pack_b32_f16 v4, v45, v41
	v_addc_co_u32_e32 v3, vcc, 0, v1, vcc
	global_store_dword v[2:3], v4, off offset:308
	v_pack_b32_f16 v4, v40, v38
	v_add_co_u32_e32 v0, vcc, 0x3000, v0
	global_store_dword v[2:3], v4, off offset:3308
	v_pack_b32_f16 v2, v44, v39
	v_addc_co_u32_e32 v1, vcc, 0, v1, vcc
	global_store_dword v[0:1], v2, off offset:2212
.LBB0_13:
	s_endpgm
	.section	.rodata,"a",@progbits
	.p2align	6, 0x0
	.amdhsa_kernel fft_rtc_fwd_len3750_factors_3_5_5_10_5_wgs_125_tpt_125_halfLds_half_ip_CI_unitstride_sbrr_dirReg
		.amdhsa_group_segment_fixed_size 0
		.amdhsa_private_segment_fixed_size 0
		.amdhsa_kernarg_size 88
		.amdhsa_user_sgpr_count 6
		.amdhsa_user_sgpr_private_segment_buffer 1
		.amdhsa_user_sgpr_dispatch_ptr 0
		.amdhsa_user_sgpr_queue_ptr 0
		.amdhsa_user_sgpr_kernarg_segment_ptr 1
		.amdhsa_user_sgpr_dispatch_id 0
		.amdhsa_user_sgpr_flat_scratch_init 0
		.amdhsa_user_sgpr_private_segment_size 0
		.amdhsa_uses_dynamic_stack 0
		.amdhsa_system_sgpr_private_segment_wavefront_offset 0
		.amdhsa_system_sgpr_workgroup_id_x 1
		.amdhsa_system_sgpr_workgroup_id_y 0
		.amdhsa_system_sgpr_workgroup_id_z 0
		.amdhsa_system_sgpr_workgroup_info 0
		.amdhsa_system_vgpr_workitem_id 0
		.amdhsa_next_free_vgpr 105
		.amdhsa_next_free_sgpr 22
		.amdhsa_reserve_vcc 1
		.amdhsa_reserve_flat_scratch 0
		.amdhsa_float_round_mode_32 0
		.amdhsa_float_round_mode_16_64 0
		.amdhsa_float_denorm_mode_32 3
		.amdhsa_float_denorm_mode_16_64 3
		.amdhsa_dx10_clamp 1
		.amdhsa_ieee_mode 1
		.amdhsa_fp16_overflow 0
		.amdhsa_exception_fp_ieee_invalid_op 0
		.amdhsa_exception_fp_denorm_src 0
		.amdhsa_exception_fp_ieee_div_zero 0
		.amdhsa_exception_fp_ieee_overflow 0
		.amdhsa_exception_fp_ieee_underflow 0
		.amdhsa_exception_fp_ieee_inexact 0
		.amdhsa_exception_int_div_zero 0
	.end_amdhsa_kernel
	.text
.Lfunc_end0:
	.size	fft_rtc_fwd_len3750_factors_3_5_5_10_5_wgs_125_tpt_125_halfLds_half_ip_CI_unitstride_sbrr_dirReg, .Lfunc_end0-fft_rtc_fwd_len3750_factors_3_5_5_10_5_wgs_125_tpt_125_halfLds_half_ip_CI_unitstride_sbrr_dirReg
                                        ; -- End function
	.section	.AMDGPU.csdata,"",@progbits
; Kernel info:
; codeLenInByte = 20416
; NumSgprs: 26
; NumVgprs: 105
; ScratchSize: 0
; MemoryBound: 0
; FloatMode: 240
; IeeeMode: 1
; LDSByteSize: 0 bytes/workgroup (compile time only)
; SGPRBlocks: 3
; VGPRBlocks: 26
; NumSGPRsForWavesPerEU: 26
; NumVGPRsForWavesPerEU: 105
; Occupancy: 2
; WaveLimiterHint : 1
; COMPUTE_PGM_RSRC2:SCRATCH_EN: 0
; COMPUTE_PGM_RSRC2:USER_SGPR: 6
; COMPUTE_PGM_RSRC2:TRAP_HANDLER: 0
; COMPUTE_PGM_RSRC2:TGID_X_EN: 1
; COMPUTE_PGM_RSRC2:TGID_Y_EN: 0
; COMPUTE_PGM_RSRC2:TGID_Z_EN: 0
; COMPUTE_PGM_RSRC2:TIDIG_COMP_CNT: 0
	.type	__hip_cuid_6d68b148d67e904b,@object ; @__hip_cuid_6d68b148d67e904b
	.section	.bss,"aw",@nobits
	.globl	__hip_cuid_6d68b148d67e904b
__hip_cuid_6d68b148d67e904b:
	.byte	0                               ; 0x0
	.size	__hip_cuid_6d68b148d67e904b, 1

	.ident	"AMD clang version 19.0.0git (https://github.com/RadeonOpenCompute/llvm-project roc-6.4.0 25133 c7fe45cf4b819c5991fe208aaa96edf142730f1d)"
	.section	".note.GNU-stack","",@progbits
	.addrsig
	.addrsig_sym __hip_cuid_6d68b148d67e904b
	.amdgpu_metadata
---
amdhsa.kernels:
  - .args:
      - .actual_access:  read_only
        .address_space:  global
        .offset:         0
        .size:           8
        .value_kind:     global_buffer
      - .offset:         8
        .size:           8
        .value_kind:     by_value
      - .actual_access:  read_only
        .address_space:  global
        .offset:         16
        .size:           8
        .value_kind:     global_buffer
      - .actual_access:  read_only
        .address_space:  global
        .offset:         24
        .size:           8
        .value_kind:     global_buffer
      - .offset:         32
        .size:           8
        .value_kind:     by_value
      - .actual_access:  read_only
        .address_space:  global
        .offset:         40
        .size:           8
        .value_kind:     global_buffer
      - .actual_access:  read_only
        .address_space:  global
        .offset:         48
        .size:           8
        .value_kind:     global_buffer
      - .offset:         56
        .size:           4
        .value_kind:     by_value
      - .actual_access:  read_only
        .address_space:  global
        .offset:         64
        .size:           8
        .value_kind:     global_buffer
      - .actual_access:  read_only
        .address_space:  global
        .offset:         72
        .size:           8
        .value_kind:     global_buffer
      - .address_space:  global
        .offset:         80
        .size:           8
        .value_kind:     global_buffer
    .group_segment_fixed_size: 0
    .kernarg_segment_align: 8
    .kernarg_segment_size: 88
    .language:       OpenCL C
    .language_version:
      - 2
      - 0
    .max_flat_workgroup_size: 125
    .name:           fft_rtc_fwd_len3750_factors_3_5_5_10_5_wgs_125_tpt_125_halfLds_half_ip_CI_unitstride_sbrr_dirReg
    .private_segment_fixed_size: 0
    .sgpr_count:     26
    .sgpr_spill_count: 0
    .symbol:         fft_rtc_fwd_len3750_factors_3_5_5_10_5_wgs_125_tpt_125_halfLds_half_ip_CI_unitstride_sbrr_dirReg.kd
    .uniform_work_group_size: 1
    .uses_dynamic_stack: false
    .vgpr_count:     105
    .vgpr_spill_count: 0
    .wavefront_size: 64
amdhsa.target:   amdgcn-amd-amdhsa--gfx906
amdhsa.version:
  - 1
  - 2
...

	.end_amdgpu_metadata
